;; amdgpu-corpus repo=ROCm/rocFFT kind=compiled arch=gfx1201 opt=O3
	.text
	.amdgcn_target "amdgcn-amd-amdhsa--gfx1201"
	.amdhsa_code_object_version 6
	.protected	fft_rtc_back_len3840_factors_10_6_2_2_2_2_2_2_wgs_128_tpt_128_halfLds_half_ip_CI_sbrr_dirReg ; -- Begin function fft_rtc_back_len3840_factors_10_6_2_2_2_2_2_2_wgs_128_tpt_128_halfLds_half_ip_CI_sbrr_dirReg
	.globl	fft_rtc_back_len3840_factors_10_6_2_2_2_2_2_2_wgs_128_tpt_128_halfLds_half_ip_CI_sbrr_dirReg
	.p2align	8
	.type	fft_rtc_back_len3840_factors_10_6_2_2_2_2_2_2_wgs_128_tpt_128_halfLds_half_ip_CI_sbrr_dirReg,@function
fft_rtc_back_len3840_factors_10_6_2_2_2_2_2_2_wgs_128_tpt_128_halfLds_half_ip_CI_sbrr_dirReg: ; @fft_rtc_back_len3840_factors_10_6_2_2_2_2_2_2_wgs_128_tpt_128_halfLds_half_ip_CI_sbrr_dirReg
; %bb.0:
	s_clause 0x2
	s_load_b64 s[12:13], s[0:1], 0x18
	s_load_b128 s[4:7], s[0:1], 0x0
	s_load_b64 s[10:11], s[0:1], 0x50
	v_mov_b32_e32 v3, 0
	v_mov_b32_e32 v1, 0
	v_dual_mov_b32 v2, 0 :: v_dual_mov_b32 v5, ttmp9
	s_mov_b32 s3, 0
	s_delay_alu instid0(VALU_DEP_3) | instskip(SKIP_3) | instid1(VALU_DEP_1)
	v_mov_b32_e32 v6, v3
	s_wait_kmcnt 0x0
	s_load_b64 s[8:9], s[12:13], 0x0
	v_cmp_lt_u64_e64 s2, s[6:7], 2
	s_and_b32 vcc_lo, exec_lo, s2
	s_cbranch_vccnz .LBB0_8
; %bb.1:
	s_load_b64 s[16:17], s[0:1], 0x10
	v_mov_b32_e32 v1, 0
	v_mov_b32_e32 v2, 0
	s_add_nc_u64 s[14:15], s[12:13], 8
	s_mov_b64 s[18:19], 1
	s_wait_kmcnt 0x0
	s_add_nc_u64 s[16:17], s[16:17], 8
.LBB0_2:                                ; =>This Inner Loop Header: Depth=1
	s_load_b64 s[20:21], s[16:17], 0x0
                                        ; implicit-def: $vgpr7_vgpr8
	s_mov_b32 s2, exec_lo
	s_wait_kmcnt 0x0
	v_or_b32_e32 v4, s21, v6
	s_delay_alu instid0(VALU_DEP_1)
	v_cmpx_ne_u64_e32 0, v[3:4]
	s_wait_alu 0xfffe
	s_xor_b32 s22, exec_lo, s2
	s_cbranch_execz .LBB0_4
; %bb.3:                                ;   in Loop: Header=BB0_2 Depth=1
	s_cvt_f32_u32 s2, s20
	s_cvt_f32_u32 s23, s21
	s_sub_nc_u64 s[26:27], 0, s[20:21]
	s_wait_alu 0xfffe
	s_delay_alu instid0(SALU_CYCLE_1) | instskip(SKIP_1) | instid1(SALU_CYCLE_2)
	s_fmamk_f32 s2, s23, 0x4f800000, s2
	s_wait_alu 0xfffe
	v_s_rcp_f32 s2, s2
	s_delay_alu instid0(TRANS32_DEP_1) | instskip(SKIP_1) | instid1(SALU_CYCLE_2)
	s_mul_f32 s2, s2, 0x5f7ffffc
	s_wait_alu 0xfffe
	s_mul_f32 s23, s2, 0x2f800000
	s_wait_alu 0xfffe
	s_delay_alu instid0(SALU_CYCLE_2) | instskip(SKIP_1) | instid1(SALU_CYCLE_2)
	s_trunc_f32 s23, s23
	s_wait_alu 0xfffe
	s_fmamk_f32 s2, s23, 0xcf800000, s2
	s_cvt_u32_f32 s25, s23
	s_wait_alu 0xfffe
	s_delay_alu instid0(SALU_CYCLE_1) | instskip(SKIP_1) | instid1(SALU_CYCLE_2)
	s_cvt_u32_f32 s24, s2
	s_wait_alu 0xfffe
	s_mul_u64 s[28:29], s[26:27], s[24:25]
	s_wait_alu 0xfffe
	s_mul_hi_u32 s31, s24, s29
	s_mul_i32 s30, s24, s29
	s_mul_hi_u32 s2, s24, s28
	s_mul_i32 s33, s25, s28
	s_wait_alu 0xfffe
	s_add_nc_u64 s[30:31], s[2:3], s[30:31]
	s_mul_hi_u32 s23, s25, s28
	s_mul_hi_u32 s34, s25, s29
	s_add_co_u32 s2, s30, s33
	s_wait_alu 0xfffe
	s_add_co_ci_u32 s2, s31, s23
	s_mul_i32 s28, s25, s29
	s_add_co_ci_u32 s29, s34, 0
	s_wait_alu 0xfffe
	s_add_nc_u64 s[28:29], s[2:3], s[28:29]
	s_wait_alu 0xfffe
	v_add_co_u32 v4, s2, s24, s28
	s_delay_alu instid0(VALU_DEP_1) | instskip(SKIP_1) | instid1(VALU_DEP_1)
	s_cmp_lg_u32 s2, 0
	s_add_co_ci_u32 s25, s25, s29
	v_readfirstlane_b32 s24, v4
	s_wait_alu 0xfffe
	s_delay_alu instid0(VALU_DEP_1)
	s_mul_u64 s[26:27], s[26:27], s[24:25]
	s_wait_alu 0xfffe
	s_mul_hi_u32 s29, s24, s27
	s_mul_i32 s28, s24, s27
	s_mul_hi_u32 s2, s24, s26
	s_mul_i32 s30, s25, s26
	s_wait_alu 0xfffe
	s_add_nc_u64 s[28:29], s[2:3], s[28:29]
	s_mul_hi_u32 s23, s25, s26
	s_mul_hi_u32 s24, s25, s27
	s_wait_alu 0xfffe
	s_add_co_u32 s2, s28, s30
	s_add_co_ci_u32 s2, s29, s23
	s_mul_i32 s26, s25, s27
	s_add_co_ci_u32 s27, s24, 0
	s_wait_alu 0xfffe
	s_add_nc_u64 s[26:27], s[2:3], s[26:27]
	s_wait_alu 0xfffe
	v_add_co_u32 v4, s2, v4, s26
	s_delay_alu instid0(VALU_DEP_1) | instskip(SKIP_1) | instid1(VALU_DEP_1)
	s_cmp_lg_u32 s2, 0
	s_add_co_ci_u32 s2, s25, s27
	v_mul_hi_u32 v13, v5, v4
	s_wait_alu 0xfffe
	v_mad_co_u64_u32 v[7:8], null, v5, s2, 0
	v_mad_co_u64_u32 v[9:10], null, v6, v4, 0
	v_mad_co_u64_u32 v[11:12], null, v6, s2, 0
	s_delay_alu instid0(VALU_DEP_3) | instskip(SKIP_1) | instid1(VALU_DEP_4)
	v_add_co_u32 v4, vcc_lo, v13, v7
	s_wait_alu 0xfffd
	v_add_co_ci_u32_e32 v7, vcc_lo, 0, v8, vcc_lo
	s_delay_alu instid0(VALU_DEP_2) | instskip(SKIP_1) | instid1(VALU_DEP_2)
	v_add_co_u32 v4, vcc_lo, v4, v9
	s_wait_alu 0xfffd
	v_add_co_ci_u32_e32 v4, vcc_lo, v7, v10, vcc_lo
	s_wait_alu 0xfffd
	v_add_co_ci_u32_e32 v7, vcc_lo, 0, v12, vcc_lo
	s_delay_alu instid0(VALU_DEP_2) | instskip(SKIP_1) | instid1(VALU_DEP_2)
	v_add_co_u32 v4, vcc_lo, v4, v11
	s_wait_alu 0xfffd
	v_add_co_ci_u32_e32 v9, vcc_lo, 0, v7, vcc_lo
	s_delay_alu instid0(VALU_DEP_2) | instskip(SKIP_1) | instid1(VALU_DEP_3)
	v_mul_lo_u32 v10, s21, v4
	v_mad_co_u64_u32 v[7:8], null, s20, v4, 0
	v_mul_lo_u32 v11, s20, v9
	s_delay_alu instid0(VALU_DEP_2) | instskip(NEXT) | instid1(VALU_DEP_2)
	v_sub_co_u32 v7, vcc_lo, v5, v7
	v_add3_u32 v8, v8, v11, v10
	s_delay_alu instid0(VALU_DEP_1) | instskip(SKIP_1) | instid1(VALU_DEP_1)
	v_sub_nc_u32_e32 v10, v6, v8
	s_wait_alu 0xfffd
	v_subrev_co_ci_u32_e64 v10, s2, s21, v10, vcc_lo
	v_add_co_u32 v11, s2, v4, 2
	s_wait_alu 0xf1ff
	v_add_co_ci_u32_e64 v12, s2, 0, v9, s2
	v_sub_co_u32 v13, s2, v7, s20
	v_sub_co_ci_u32_e32 v8, vcc_lo, v6, v8, vcc_lo
	s_wait_alu 0xf1ff
	v_subrev_co_ci_u32_e64 v10, s2, 0, v10, s2
	s_delay_alu instid0(VALU_DEP_3) | instskip(NEXT) | instid1(VALU_DEP_3)
	v_cmp_le_u32_e32 vcc_lo, s20, v13
	v_cmp_eq_u32_e64 s2, s21, v8
	s_wait_alu 0xfffd
	v_cndmask_b32_e64 v13, 0, -1, vcc_lo
	v_cmp_le_u32_e32 vcc_lo, s21, v10
	s_wait_alu 0xfffd
	v_cndmask_b32_e64 v14, 0, -1, vcc_lo
	v_cmp_le_u32_e32 vcc_lo, s20, v7
	;; [unrolled: 3-line block ×3, first 2 shown]
	s_wait_alu 0xfffd
	v_cndmask_b32_e64 v15, 0, -1, vcc_lo
	v_cmp_eq_u32_e32 vcc_lo, s21, v10
	s_wait_alu 0xf1ff
	s_delay_alu instid0(VALU_DEP_2)
	v_cndmask_b32_e64 v7, v15, v7, s2
	s_wait_alu 0xfffd
	v_cndmask_b32_e32 v10, v14, v13, vcc_lo
	v_add_co_u32 v13, vcc_lo, v4, 1
	s_wait_alu 0xfffd
	v_add_co_ci_u32_e32 v14, vcc_lo, 0, v9, vcc_lo
	s_delay_alu instid0(VALU_DEP_3) | instskip(SKIP_2) | instid1(VALU_DEP_3)
	v_cmp_ne_u32_e32 vcc_lo, 0, v10
	s_wait_alu 0xfffd
	v_cndmask_b32_e32 v10, v13, v11, vcc_lo
	v_cndmask_b32_e32 v8, v14, v12, vcc_lo
	v_cmp_ne_u32_e32 vcc_lo, 0, v7
	s_wait_alu 0xfffd
	s_delay_alu instid0(VALU_DEP_2)
	v_dual_cndmask_b32 v7, v4, v10 :: v_dual_cndmask_b32 v8, v9, v8
.LBB0_4:                                ;   in Loop: Header=BB0_2 Depth=1
	s_wait_alu 0xfffe
	s_and_not1_saveexec_b32 s2, s22
	s_cbranch_execz .LBB0_6
; %bb.5:                                ;   in Loop: Header=BB0_2 Depth=1
	v_cvt_f32_u32_e32 v4, s20
	s_sub_co_i32 s22, 0, s20
	s_delay_alu instid0(VALU_DEP_1) | instskip(NEXT) | instid1(TRANS32_DEP_1)
	v_rcp_iflag_f32_e32 v4, v4
	v_mul_f32_e32 v4, 0x4f7ffffe, v4
	s_delay_alu instid0(VALU_DEP_1) | instskip(SKIP_1) | instid1(VALU_DEP_1)
	v_cvt_u32_f32_e32 v4, v4
	s_wait_alu 0xfffe
	v_mul_lo_u32 v7, s22, v4
	s_delay_alu instid0(VALU_DEP_1) | instskip(NEXT) | instid1(VALU_DEP_1)
	v_mul_hi_u32 v7, v4, v7
	v_add_nc_u32_e32 v4, v4, v7
	s_delay_alu instid0(VALU_DEP_1) | instskip(NEXT) | instid1(VALU_DEP_1)
	v_mul_hi_u32 v4, v5, v4
	v_mul_lo_u32 v7, v4, s20
	v_add_nc_u32_e32 v8, 1, v4
	s_delay_alu instid0(VALU_DEP_2) | instskip(NEXT) | instid1(VALU_DEP_1)
	v_sub_nc_u32_e32 v7, v5, v7
	v_subrev_nc_u32_e32 v9, s20, v7
	v_cmp_le_u32_e32 vcc_lo, s20, v7
	s_wait_alu 0xfffd
	s_delay_alu instid0(VALU_DEP_2) | instskip(NEXT) | instid1(VALU_DEP_1)
	v_dual_cndmask_b32 v7, v7, v9 :: v_dual_cndmask_b32 v4, v4, v8
	v_cmp_le_u32_e32 vcc_lo, s20, v7
	s_delay_alu instid0(VALU_DEP_2) | instskip(SKIP_1) | instid1(VALU_DEP_1)
	v_add_nc_u32_e32 v8, 1, v4
	s_wait_alu 0xfffd
	v_dual_cndmask_b32 v7, v4, v8 :: v_dual_mov_b32 v8, v3
.LBB0_6:                                ;   in Loop: Header=BB0_2 Depth=1
	s_wait_alu 0xfffe
	s_or_b32 exec_lo, exec_lo, s2
	s_load_b64 s[22:23], s[14:15], 0x0
	s_delay_alu instid0(VALU_DEP_1)
	v_mul_lo_u32 v4, v8, s20
	v_mul_lo_u32 v11, v7, s21
	v_mad_co_u64_u32 v[9:10], null, v7, s20, 0
	s_add_nc_u64 s[18:19], s[18:19], 1
	s_add_nc_u64 s[14:15], s[14:15], 8
	s_wait_alu 0xfffe
	v_cmp_ge_u64_e64 s2, s[18:19], s[6:7]
	s_add_nc_u64 s[16:17], s[16:17], 8
	s_delay_alu instid0(VALU_DEP_2) | instskip(NEXT) | instid1(VALU_DEP_3)
	v_add3_u32 v4, v10, v11, v4
	v_sub_co_u32 v5, vcc_lo, v5, v9
	s_wait_alu 0xfffd
	s_delay_alu instid0(VALU_DEP_2) | instskip(SKIP_3) | instid1(VALU_DEP_2)
	v_sub_co_ci_u32_e32 v4, vcc_lo, v6, v4, vcc_lo
	s_and_b32 vcc_lo, exec_lo, s2
	s_wait_kmcnt 0x0
	v_mul_lo_u32 v6, s23, v5
	v_mul_lo_u32 v4, s22, v4
	v_mad_co_u64_u32 v[1:2], null, s22, v5, v[1:2]
	s_delay_alu instid0(VALU_DEP_1)
	v_add3_u32 v2, v6, v2, v4
	s_wait_alu 0xfffe
	s_cbranch_vccnz .LBB0_9
; %bb.7:                                ;   in Loop: Header=BB0_2 Depth=1
	v_dual_mov_b32 v5, v7 :: v_dual_mov_b32 v6, v8
	s_branch .LBB0_2
.LBB0_8:
	v_dual_mov_b32 v8, v6 :: v_dual_mov_b32 v7, v5
.LBB0_9:
	s_lshl_b64 s[2:3], s[6:7], 3
	v_or_b32_e32 v30, 0x80, v0
	s_wait_alu 0xfffe
	s_add_nc_u64 s[2:3], s[12:13], s[2:3]
	v_or_b32_e32 v26, 0x100, v0
	s_load_b64 s[2:3], s[2:3], 0x0
	s_load_b64 s[0:1], s[0:1], 0x20
	v_or_b32_e32 v24, 0x280, v0
	v_or_b32_e32 v73, 0x500, v0
	;; [unrolled: 1-line block ×12, first 2 shown]
                                        ; implicit-def: $vgpr36
                                        ; implicit-def: $vgpr33
                                        ; implicit-def: $vgpr65
                                        ; implicit-def: $vgpr41
                                        ; implicit-def: $vgpr57
                                        ; implicit-def: $vgpr67
                                        ; implicit-def: $vgpr63
                                        ; implicit-def: $vgpr38
                                        ; implicit-def: $vgpr39
                                        ; implicit-def: $vgpr40
                                        ; implicit-def: $vgpr42
                                        ; implicit-def: $vgpr44
                                        ; implicit-def: $vgpr46
                                        ; implicit-def: $vgpr48
                                        ; implicit-def: $vgpr61_vgpr62
                                        ; implicit-def: $vgpr59_vgpr60
                                        ; implicit-def: $vgpr55_vgpr56
                                        ; implicit-def: $vgpr53_vgpr54
                                        ; implicit-def: $vgpr51_vgpr52
                                        ; implicit-def: $vgpr49_vgpr50
	s_wait_kmcnt 0x0
	v_mul_lo_u32 v4, s2, v8
	v_mul_lo_u32 v5, s3, v7
	v_mad_co_u64_u32 v[2:3], null, s2, v7, v[1:2]
	v_cmp_gt_u64_e32 vcc_lo, s[0:1], v[7:8]
	v_cmp_le_u64_e64 s0, s[0:1], v[7:8]
	s_delay_alu instid0(VALU_DEP_3) | instskip(NEXT) | instid1(VALU_DEP_2)
	v_add3_u32 v3, v5, v3, v4
	s_and_saveexec_b32 s1, s0
	s_wait_alu 0xfffe
	s_xor_b32 s0, exec_lo, s1
	s_cbranch_execz .LBB0_11
; %bb.10:
	v_or_b32_e32 v36, 0x80, v0
	v_mov_b32_e32 v1, 0
	v_or_b32_e32 v57, 0x180, v0
	v_or_b32_e32 v33, 0x100, v0
	;; [unrolled: 1-line block ×4, first 2 shown]
	v_mov_b32_e32 v37, v1
	v_or_b32_e32 v63, 0x300, v0
	v_or_b32_e32 v41, 0x500, v0
	v_or_b32_e32 v38, 0x380, v0
	v_or_b32_e32 v39, 0x400, v0
	v_mov_b32_e32 v62, v37
	v_mov_b32_e32 v34, v1
	v_dual_mov_b32 v58, v1 :: v_dual_mov_b32 v61, v36
	v_dual_mov_b32 v66, v1 :: v_dual_mov_b32 v55, v57
	s_delay_alu instid0(VALU_DEP_3)
	v_dual_mov_b32 v60, v34 :: v_dual_mov_b32 v51, v65
	v_dual_mov_b32 v68, v1 :: v_dual_mov_b32 v59, v33
	;; [unrolled: 1-line block ×4, first 2 shown]
	v_or_b32_e32 v40, 0x480, v0
	v_or_b32_e32 v42, 0x580, v0
	;; [unrolled: 1-line block ×5, first 2 shown]
	v_mov_b32_e32 v54, v68
	v_mov_b32_e32 v52, v66
	;; [unrolled: 1-line block ×3, first 2 shown]
.LBB0_11:
	s_wait_alu 0xfffe
	s_or_saveexec_b32 s1, s0
	v_lshlrev_b64_e32 v[34:35], 2, v[2:3]
	v_or_b32_e32 v84, 0x780, v0
	v_or_b32_e32 v82, 0x900, v0
	;; [unrolled: 1-line block ×15, first 2 shown]
                                        ; implicit-def: $vgpr122
                                        ; implicit-def: $vgpr2
                                        ; implicit-def: $vgpr110
                                        ; implicit-def: $vgpr3
                                        ; implicit-def: $vgpr115
                                        ; implicit-def: $vgpr105
                                        ; implicit-def: $vgpr114
                                        ; implicit-def: $vgpr7
                                        ; implicit-def: $vgpr116
                                        ; implicit-def: $vgpr100
                                        ; implicit-def: $vgpr112
                                        ; implicit-def: $vgpr8
                                        ; implicit-def: $vgpr117
                                        ; implicit-def: $vgpr103
                                        ; implicit-def: $vgpr113
                                        ; implicit-def: $vgpr11
                                        ; implicit-def: $vgpr123
                                        ; implicit-def: $vgpr109
                                        ; implicit-def: $vgpr111
                                        ; implicit-def: $vgpr107
                                        ; implicit-def: $vgpr12
                                        ; implicit-def: $vgpr9
                                        ; implicit-def: $vgpr98
                                        ; implicit-def: $vgpr4
                                        ; implicit-def: $vgpr118
                                        ; implicit-def: $vgpr13
                                        ; implicit-def: $vgpr104
                                        ; implicit-def: $vgpr5
                                        ; implicit-def: $vgpr119
                                        ; implicit-def: $vgpr10
                                        ; implicit-def: $vgpr101
                                        ; implicit-def: $vgpr6
                                        ; implicit-def: $vgpr120
                                        ; implicit-def: $vgpr106
                                        ; implicit-def: $vgpr102
                                        ; implicit-def: $vgpr96
                                        ; implicit-def: $vgpr121
                                        ; implicit-def: $vgpr108
                                        ; implicit-def: $vgpr99
                                        ; implicit-def: $vgpr97
                                        ; implicit-def: $vgpr16
                                        ; implicit-def: $vgpr14
                                        ; implicit-def: $vgpr18
                                        ; implicit-def: $vgpr15
                                        ; implicit-def: $vgpr91
                                        ; implicit-def: $vgpr88
                                        ; implicit-def: $vgpr87
                                        ; implicit-def: $vgpr17
                                        ; implicit-def: $vgpr92
                                        ; implicit-def: $vgpr89
                                        ; implicit-def: $vgpr43
                                        ; implicit-def: $vgpr19
                                        ; implicit-def: $vgpr93
                                        ; implicit-def: $vgpr90
                                        ; implicit-def: $vgpr45
                                        ; implicit-def: $vgpr20
                                        ; implicit-def: $vgpr95
                                        ; implicit-def: $vgpr94
                                        ; implicit-def: $vgpr21
                                        ; implicit-def: $vgpr47
	s_wait_alu 0xfffe
	s_xor_b32 exec_lo, exec_lo, s1
	s_cbranch_execz .LBB0_13
; %bb.12:
	v_mad_co_u64_u32 v[2:3], null, s8, v0, 0
	v_mad_co_u64_u32 v[6:7], null, s8, v22, 0
	;; [unrolled: 1-line block ×4, first 2 shown]
	s_delay_alu instid0(VALU_DEP_4) | instskip(SKIP_2) | instid1(VALU_DEP_3)
	v_mov_b32_e32 v1, v3
	v_mad_co_u64_u32 v[38:39], null, s8, v80, 0
	v_mad_co_u64_u32 v[40:41], null, s8, v77, 0
	;; [unrolled: 1-line block ×3, first 2 shown]
	v_mov_b32_e32 v1, v7
	v_mad_co_u64_u32 v[9:10], null, s8, v74, 0
	v_mad_co_u64_u32 v[48:49], null, s8, v68, 0
	s_delay_alu instid0(VALU_DEP_3) | instskip(SKIP_4) | instid1(VALU_DEP_3)
	v_mad_co_u64_u32 v[13:14], null, s9, v22, v[1:2]
	v_mad_co_u64_u32 v[14:15], null, s8, v71, 0
	v_mov_b32_e32 v3, v5
	v_add_co_u32 v1, s0, s10, v34
	v_mad_co_u64_u32 v[52:53], null, s8, v58, 0
	v_mad_co_u64_u32 v[11:12], null, s9, v32, v[3:4]
	v_dual_mov_b32 v3, v8 :: v_dual_mov_b32 v8, v10
	v_mov_b32_e32 v7, v13
	s_wait_alu 0xf1ff
	v_add_co_ci_u32_e64 v12, s0, s11, v35, s0
	v_mov_b32_e32 v63, v22
	v_mov_b32_e32 v5, v11
	v_mad_co_u64_u32 v[10:11], null, s9, v74, v[8:9]
	v_mov_b32_e32 v8, v15
	v_lshlrev_b64_e32 v[6:7], 2, v[6:7]
	s_delay_alu instid0(VALU_DEP_4)
	v_lshlrev_b64_e32 v[4:5], 2, v[4:5]
	v_mov_b32_e32 v67, v28
	v_mov_b32_e32 v57, v32
	v_mad_co_u64_u32 v[18:19], null, s9, v71, v[8:9]
	v_mad_co_u64_u32 v[19:20], null, s8, v82, 0
	v_lshlrev_b64_e32 v[9:10], 2, v[9:10]
	v_dual_mov_b32 v8, v17 :: v_dual_mov_b32 v65, v24
	s_delay_alu instid0(VALU_DEP_4) | instskip(NEXT) | instid1(VALU_DEP_2)
	v_dual_mov_b32 v36, v30 :: v_dual_mov_b32 v15, v18
	v_mad_co_u64_u32 v[17:18], null, s9, v84, v[8:9]
	v_mov_b32_e32 v8, v20
	v_lshlrev_b64_e32 v[2:3], 2, v[2:3]
	s_delay_alu instid0(VALU_DEP_4) | instskip(NEXT) | instid1(VALU_DEP_4)
	v_lshlrev_b64_e32 v[13:14], 2, v[14:15]
	v_lshlrev_b64_e32 v[15:16], 2, v[16:17]
	s_delay_alu instid0(VALU_DEP_3) | instskip(SKIP_1) | instid1(VALU_DEP_4)
	v_add_co_u32 v2, s0, v1, v2
	s_wait_alu 0xf1ff
	v_add_co_ci_u32_e64 v3, s0, v12, v3, s0
	v_add_co_u32 v4, s0, v1, v4
	s_wait_alu 0xf1ff
	v_add_co_ci_u32_e64 v5, s0, v12, v5, s0
	;; [unrolled: 3-line block ×4, first 2 shown]
	v_add_co_u32 v13, s0, v1, v13
	s_delay_alu instid0(VALU_DEP_3) | instskip(SKIP_4) | instid1(VALU_DEP_3)
	v_mad_co_u64_u32 v[20:21], null, s9, v82, v[8:9]
	v_mov_b32_e32 v8, v39
	s_wait_alu 0xf1ff
	v_add_co_ci_u32_e64 v14, s0, v12, v14, s0
	v_add_co_u32 v15, s0, v1, v15
	v_mad_co_u64_u32 v[17:18], null, s9, v80, v[8:9]
	v_lshlrev_b64_e32 v[18:19], 2, v[19:20]
	v_mad_co_u64_u32 v[20:21], null, s8, v64, 0
	v_mov_b32_e32 v8, v41
	s_wait_alu 0xf1ff
	v_add_co_ci_u32_e64 v16, s0, v12, v16, s0
	s_delay_alu instid0(VALU_DEP_2) | instskip(NEXT) | instid1(VALU_DEP_4)
	v_mad_co_u64_u32 v[41:42], null, s9, v77, v[8:9]
	v_mov_b32_e32 v8, v21
	v_mad_co_u64_u32 v[42:43], null, s8, v30, 0
	s_delay_alu instid0(VALU_DEP_2)
	v_mad_co_u64_u32 v[44:45], null, s9, v64, v[8:9]
	v_mad_co_u64_u32 v[45:46], null, s8, v28, 0
	v_mov_b32_e32 v39, v17
	v_add_co_u32 v17, s0, v1, v18
	s_wait_alu 0xf1ff
	v_add_co_ci_u32_e64 v18, s0, v12, v19, s0
	s_delay_alu instid0(VALU_DEP_3) | instskip(NEXT) | instid1(VALU_DEP_1)
	v_lshlrev_b64_e32 v[38:39], 2, v[38:39]
	v_add_co_u32 v38, s0, v1, v38
	s_wait_alu 0xf1ff
	s_delay_alu instid0(VALU_DEP_2)
	v_add_co_ci_u32_e64 v39, s0, v12, v39, s0
	s_clause 0x7
	global_load_b32 v2, v[2:3], off
	global_load_b32 v3, v[4:5], off
	;; [unrolled: 1-line block ×8, first 2 shown]
	v_mov_b32_e32 v6, v46
	v_mad_co_u64_u32 v[13:14], null, s8, v76, 0
	v_mov_b32_e32 v19, v43
	v_mad_co_u64_u32 v[17:18], null, s8, v73, 0
	v_mad_co_u64_u32 v[38:39], null, s8, v70, 0
	s_delay_alu instid0(VALU_DEP_3) | instskip(SKIP_1) | instid1(VALU_DEP_2)
	v_mad_co_u64_u32 v[9:10], null, s9, v30, v[19:20]
	v_lshlrev_b64_e32 v[4:5], 2, v[40:41]
	v_mov_b32_e32 v43, v9
	s_delay_alu instid0(VALU_DEP_2) | instskip(SKIP_1) | instid1(VALU_DEP_3)
	v_add_co_u32 v4, s0, v1, v4
	s_wait_alu 0xf1ff
	v_add_co_ci_u32_e64 v5, s0, v12, v5, s0
	s_wait_loadcnt 0x7
	v_lshrrev_b32_e32 v122, 16, v2
	s_wait_loadcnt 0x6
	v_lshrrev_b32_e32 v110, 16, v3
	;; [unrolled: 2-line block ×3, first 2 shown]
	s_wait_loadcnt 0x4
	v_mad_co_u64_u32 v[9:10], null, s9, v28, v[6:7]
	v_dual_mov_b32 v6, v14 :: v_dual_mov_b32 v21, v44
	v_lshrrev_b32_e32 v114, 16, v7
	s_wait_loadcnt 0x3
	v_lshrrev_b32_e32 v116, 16, v100
	s_wait_loadcnt 0x2
	;; [unrolled: 2-line block ×3, first 2 shown]
	v_lshrrev_b32_e32 v117, 16, v103
	v_mov_b32_e32 v46, v9
	v_mad_co_u64_u32 v[9:10], null, s9, v76, v[6:7]
	v_mov_b32_e32 v6, v18
	v_lshlrev_b64_e32 v[15:16], 2, v[20:21]
	v_lshlrev_b64_e32 v[19:20], 2, v[42:43]
	v_mad_co_u64_u32 v[42:43], null, s8, v85, 0
	v_lshlrev_b64_e32 v[40:41], 2, v[45:46]
	v_mov_b32_e32 v14, v9
	v_mad_co_u64_u32 v[9:10], null, s9, v73, v[6:7]
	v_mov_b32_e32 v6, v39
	v_add_co_u32 v15, s0, v1, v15
	s_wait_alu 0xf1ff
	v_add_co_ci_u32_e64 v16, s0, v12, v16, s0
	v_add_co_u32 v19, s0, v1, v19
	v_dual_mov_b32 v18, v9 :: v_dual_mov_b32 v21, v49
	v_mad_co_u64_u32 v[9:10], null, s9, v70, v[6:7]
	v_mov_b32_e32 v6, v43
	s_wait_alu 0xf1ff
	v_add_co_ci_u32_e64 v20, s0, v12, v20, s0
	v_add_co_u32 v40, s0, v1, v40
	s_delay_alu instid0(VALU_DEP_3)
	v_mad_co_u64_u32 v[43:44], null, s9, v85, v[6:7]
	v_mov_b32_e32 v39, v9
	v_lshlrev_b64_e32 v[13:14], 2, v[13:14]
	v_mad_co_u64_u32 v[44:45], null, s8, v83, 0
	v_lshlrev_b64_e32 v[17:18], 2, v[17:18]
	s_wait_alu 0xf1ff
	v_add_co_ci_u32_e64 v41, s0, v12, v41, s0
	s_delay_alu instid0(VALU_DEP_4)
	v_add_co_u32 v13, s0, v1, v13
	v_lshlrev_b64_e32 v[9:10], 2, v[38:39]
	s_wait_alu 0xf1ff
	v_add_co_ci_u32_e64 v14, s0, v12, v14, s0
	v_add_co_u32 v17, s0, v1, v17
	v_mov_b32_e32 v6, v45
	v_mad_co_u64_u32 v[38:39], null, s8, v79, 0
	s_wait_alu 0xf1ff
	v_add_co_ci_u32_e64 v18, s0, v12, v18, s0
	v_add_co_u32 v46, s0, v1, v9
	s_wait_alu 0xf1ff
	v_add_co_ci_u32_e64 v47, s0, v12, v10, s0
	v_lshlrev_b64_e32 v[9:10], 2, v[42:43]
	v_mad_co_u64_u32 v[42:43], null, s9, v83, v[6:7]
	v_mov_b32_e32 v6, v39
	s_wait_loadcnt 0x0
	v_lshrrev_b32_e32 v113, 16, v11
	s_delay_alu instid0(VALU_DEP_4)
	v_add_co_u32 v50, s0, v1, v9
	s_wait_alu 0xf1ff
	v_add_co_ci_u32_e64 v51, s0, v12, v10, s0
	v_mov_b32_e32 v45, v42
	v_mad_co_u64_u32 v[42:43], null, s9, v79, v[6:7]
	s_clause 0x7
	global_load_b32 v109, v[4:5], off
	global_load_b32 v107, v[15:16], off
	;; [unrolled: 1-line block ×8, first 2 shown]
	v_mad_co_u64_u32 v[16:17], null, s9, v68, v[21:22]
	v_mad_co_u64_u32 v[18:19], null, s8, v26, 0
	v_mov_b32_e32 v17, v53
	v_mov_b32_e32 v39, v42
	v_lshlrev_b64_e32 v[14:15], 2, v[44:45]
	v_mad_co_u64_u32 v[42:43], null, s8, v75, 0
	v_mov_b32_e32 v49, v16
	v_mad_co_u64_u32 v[16:17], null, s9, v58, v[17:18]
	v_mov_b32_e32 v17, v19
	v_lshlrev_b64_e32 v[20:21], 2, v[38:39]
	v_mad_co_u64_u32 v[38:39], null, s8, v24, 0
	v_add_co_u32 v14, s0, v1, v14
	v_mov_b32_e32 v53, v16
	v_mad_co_u64_u32 v[16:17], null, s9, v26, v[17:18]
	v_lshlrev_b64_e32 v[40:41], 2, v[48:49]
	v_mov_b32_e32 v17, v39
	s_wait_alu 0xf1ff
	v_add_co_ci_u32_e64 v15, s0, v12, v15, s0
	v_add_co_u32 v20, s0, v1, v20
	v_mov_b32_e32 v19, v16
	v_mad_co_u64_u32 v[16:17], null, s9, v24, v[17:18]
	v_lshlrev_b64_e32 v[44:45], 2, v[52:53]
	v_mov_b32_e32 v17, v43
	s_delay_alu instid0(VALU_DEP_4)
	v_lshlrev_b64_e32 v[18:19], 2, v[18:19]
	v_mad_co_u64_u32 v[46:47], null, s8, v72, 0
	s_wait_alu 0xf1ff
	v_add_co_ci_u32_e64 v21, s0, v12, v21, s0
	v_add_co_u32 v40, s0, v1, v40
	s_wait_alu 0xf1ff
	v_add_co_ci_u32_e64 v41, s0, v12, v41, s0
	v_add_co_u32 v44, s0, v1, v44
	v_mov_b32_e32 v39, v16
	v_mad_co_u64_u32 v[16:17], null, s9, v75, v[17:18]
	s_wait_alu 0xf1ff
	v_add_co_ci_u32_e64 v45, s0, v12, v45, s0
	v_mov_b32_e32 v17, v47
	v_add_co_u32 v18, s0, v1, v18
	v_lshlrev_b64_e32 v[38:39], 2, v[38:39]
	v_mov_b32_e32 v43, v16
	s_wait_alu 0xf1ff
	v_add_co_ci_u32_e64 v19, s0, v12, v19, s0
	v_mad_co_u64_u32 v[47:48], null, s9, v72, v[17:18]
	s_delay_alu instid0(VALU_DEP_4)
	v_add_co_u32 v16, s0, v1, v38
	s_wait_alu 0xf1ff
	v_add_co_ci_u32_e64 v17, s0, v12, v39, s0
	v_lshlrev_b64_e32 v[38:39], 2, v[42:43]
	v_mad_co_u64_u32 v[48:49], null, s8, v69, 0
	v_lshlrev_b64_e32 v[46:47], 2, v[46:47]
	v_mad_co_u64_u32 v[42:43], null, s8, v86, 0
	s_delay_alu instid0(VALU_DEP_4) | instskip(SKIP_2) | instid1(VALU_DEP_4)
	v_add_co_u32 v38, s0, v1, v38
	s_wait_alu 0xf1ff
	v_add_co_ci_u32_e64 v39, s0, v12, v39, s0
	v_add_co_u32 v46, s0, v1, v46
	s_wait_alu 0xf1ff
	v_add_co_ci_u32_e64 v47, s0, v12, v47, s0
	s_clause 0x7
	global_load_b32 v106, v[14:15], off
	global_load_b32 v96, v[20:21], off
	;; [unrolled: 1-line block ×8, first 2 shown]
	v_mov_b32_e32 v23, v49
	v_mad_co_u64_u32 v[53:54], null, s8, v78, 0
	v_mad_co_u64_u32 v[44:45], null, s8, v37, 0
	s_delay_alu instid0(VALU_DEP_3) | instskip(NEXT) | instid1(VALU_DEP_3)
	v_mad_co_u64_u32 v[49:50], null, s9, v69, v[23:24]
	v_dual_mov_b32 v23, v43 :: v_dual_mov_b32 v20, v54
	s_delay_alu instid0(VALU_DEP_1) | instskip(SKIP_1) | instid1(VALU_DEP_3)
	v_mad_co_u64_u32 v[50:51], null, s9, v86, v[23:24]
	v_mad_co_u64_u32 v[51:52], null, s8, v81, 0
	;; [unrolled: 1-line block ×3, first 2 shown]
	v_lshlrev_b64_e32 v[18:19], 2, v[48:49]
	s_delay_alu instid0(VALU_DEP_3) | instskip(NEXT) | instid1(VALU_DEP_3)
	v_dual_mov_b32 v43, v50 :: v_dual_mov_b32 v16, v52
	v_mov_b32_e32 v54, v20
	s_delay_alu instid0(VALU_DEP_3) | instskip(SKIP_1) | instid1(VALU_DEP_4)
	v_add_co_u32 v18, s0, v1, v18
	s_wait_alu 0xf1ff
	v_add_co_ci_u32_e64 v19, s0, v12, v19, s0
	s_wait_loadcnt 0xf
	v_lshrrev_b32_e32 v123, 16, v109
	s_wait_loadcnt 0xe
	v_lshrrev_b32_e32 v111, 16, v107
	;; [unrolled: 2-line block ×12, first 2 shown]
	s_wait_loadcnt 0x0
	v_mad_co_u64_u32 v[38:39], null, s9, v81, v[16:17]
	v_mad_co_u64_u32 v[39:40], null, s8, v66, 0
	v_lshrrev_b32_e32 v87, 16, v17
	s_delay_alu instid0(VALU_DEP_3) | instskip(NEXT) | instid1(VALU_DEP_3)
	v_mov_b32_e32 v52, v38
	v_mov_b32_e32 v16, v40
	v_lshlrev_b64_e32 v[40:41], 2, v[42:43]
	s_delay_alu instid0(VALU_DEP_2) | instskip(SKIP_2) | instid1(VALU_DEP_4)
	v_mad_co_u64_u32 v[20:21], null, s9, v66, v[16:17]
	v_mov_b32_e32 v16, v45
	v_lshlrev_b64_e32 v[45:46], 2, v[51:52]
	v_add_co_u32 v42, s0, v1, v40
	s_wait_alu 0xf1ff
	v_add_co_ci_u32_e64 v43, s0, v12, v41, s0
	v_mad_co_u64_u32 v[47:48], null, s9, v37, v[16:17]
	v_mov_b32_e32 v40, v20
	v_lshlrev_b64_e32 v[48:49], 2, v[53:54]
	v_add_co_u32 v20, s0, v1, v45
	s_wait_alu 0xf1ff
	v_add_co_ci_u32_e64 v21, s0, v12, v46, s0
	v_mov_b32_e32 v45, v47
	v_lshlrev_b64_e32 v[38:39], 2, v[39:40]
	v_add_co_u32 v40, s0, v1, v48
	s_wait_alu 0xf1ff
	v_add_co_ci_u32_e64 v41, s0, v12, v49, s0
	v_lshlrev_b64_e32 v[44:45], 2, v[44:45]
	s_delay_alu instid0(VALU_DEP_4) | instskip(SKIP_3) | instid1(VALU_DEP_4)
	v_add_co_u32 v38, s0, v1, v38
	s_wait_alu 0xf1ff
	v_add_co_ci_u32_e64 v39, s0, v12, v39, s0
	v_mov_b32_e32 v48, v69
	v_add_co_u32 v44, s0, v1, v44
	s_wait_alu 0xf1ff
	v_add_co_ci_u32_e64 v45, s0, v12, v45, s0
	s_clause 0x5
	global_load_b32 v89, v[18:19], off
	global_load_b32 v19, v[42:43], off
	;; [unrolled: 1-line block ×6, first 2 shown]
	v_dual_mov_b32 v1, 0 :: v_dual_mov_b32 v44, v71
	v_mov_b32_e32 v46, v70
	v_mov_b32_e32 v42, v72
	s_delay_alu instid0(VALU_DEP_3)
	v_dual_mov_b32 v40, v74 :: v_dual_mov_b32 v31, v1
	v_mov_b32_e32 v38, v76
	v_lshrrev_b32_e32 v12, 16, v9
	v_lshrrev_b32_e32 v16, 16, v14
	;; [unrolled: 1-line block ×3, first 2 shown]
	v_dual_mov_b32 v62, v31 :: v_dual_mov_b32 v33, v1
	v_mov_b32_e32 v23, v1
	v_mov_b32_e32 v29, v1
	;; [unrolled: 1-line block ×3, first 2 shown]
	s_delay_alu instid0(VALU_DEP_4) | instskip(NEXT) | instid1(VALU_DEP_4)
	v_dual_mov_b32 v25, v1 :: v_dual_mov_b32 v56, v33
	v_mov_b32_e32 v50, v23
	s_delay_alu instid0(VALU_DEP_4) | instskip(NEXT) | instid1(VALU_DEP_4)
	v_mov_b32_e32 v54, v29
	v_mov_b32_e32 v60, v27
	s_delay_alu instid0(VALU_DEP_4)
	v_dual_mov_b32 v52, v25 :: v_dual_mov_b32 v49, v22
	v_mov_b32_e32 v51, v24
	v_mov_b32_e32 v53, v28
	;; [unrolled: 1-line block ×8, first 2 shown]
	s_wait_loadcnt 0x5
	v_lshrrev_b32_e32 v92, 16, v89
	s_wait_loadcnt 0x4
	v_lshrrev_b32_e32 v43, 16, v19
	;; [unrolled: 2-line block ×6, first 2 shown]
.LBB0_13:
	s_or_b32 exec_lo, exec_lo, s1
	v_add_f16_e32 v25, v2, v105
	v_add_f16_e32 v23, v100, v103
	v_sub_f16_e32 v27, v115, v123
	v_add_f16_e32 v125, v105, v109
	v_sub_f16_e32 v29, v116, v117
	v_add_f16_e32 v25, v25, v100
	v_fma_f16 v124, -0.5, v23, v2
	v_sub_f16_e32 v31, v105, v100
	v_sub_f16_e32 v23, v109, v103
	v_fmac_f16_e32 v2, -0.5, v125
	v_add_f16_e32 v25, v25, v103
	v_fmamk_f16 v127, v27, 0xbb9c, v124
	v_fmac_f16_e32 v124, 0x3b9c, v27
	v_sub_f16_e32 v126, v100, v105
	v_add_f16_e32 v23, v31, v23
	v_add_f16_e64 v128, v25, v109
	v_add_f16_e32 v25, v122, v115
	v_fmac_f16_e32 v127, 0xb8b4, v29
	v_sub_f16_e32 v31, v103, v109
	v_fmamk_f16 v125, v29, 0x3b9c, v2
	v_fmac_f16_e32 v124, 0x38b4, v29
	v_add_f16_e64 v129, v116, v117
	v_fmac_f16_e32 v2, 0xbb9c, v29
	v_add_f16_e32 v25, v25, v116
	v_fmac_f16_e32 v127, 0x34f2, v23
	v_fmac_f16_e32 v125, 0xb8b4, v27
	v_add_f16_e32 v31, v126, v31
	v_fma_f16 v126, -0.5, v129, v122
	v_sub_f16_e32 v29, v105, v109
	v_fmac_f16_e32 v124, 0x34f2, v23
	v_fmac_f16_e32 v2, 0x38b4, v27
	v_add_f16_e32 v23, v25, v117
	v_add_f16_e32 v25, v115, v123
	v_sub_f16_e32 v27, v100, v103
	v_sub_f16_e32 v100, v115, v116
	;; [unrolled: 1-line block ×3, first 2 shown]
	v_fmac_f16_e32 v125, 0x34f2, v31
	v_fmamk_f16 v105, v29, 0x3b9c, v126
	v_fmac_f16_e32 v2, 0x34f2, v31
	v_fmac_f16_e32 v122, -0.5, v25
	v_add_f16_e64 v129, v23, v123
	v_add_f16_e32 v23, v100, v103
	v_fmac_f16_e32 v126, 0xbb9c, v29
	v_sub_f16_e32 v25, v116, v115
	v_sub_f16_e32 v31, v117, v123
	v_add_f16_e32 v100, v3, v7
	v_fmac_f16_e32 v105, 0x38b4, v27
	v_fma_f16 v130, 0xbb9c, v27, v122
	v_fmac_f16_e32 v126, 0xb8b4, v27
	v_add_f16_e32 v25, v25, v31
	v_fmac_f16_e32 v122, 0x3b9c, v27
	v_add_f16_e32 v27, v100, v8
	v_add_f16_e32 v31, v8, v11
	v_fmac_f16_e32 v105, 0x34f2, v23
	v_fmac_f16_e64 v130, 0x38b4, v29
	v_fmac_f16_e32 v126, 0x34f2, v23
	v_fmac_f16_e32 v122, 0xb8b4, v29
	v_add_f16_e32 v23, v27, v11
	v_fma_f16 v29, -0.5, v31, v3
	v_add_f16_e32 v27, v7, v107
	v_sub_f16_e32 v31, v114, v111
	v_fmac_f16_e64 v130, 0x34f2, v25
	v_fmac_f16_e32 v122, 0x34f2, v25
	v_add_f16_e32 v103, v23, v107
	v_sub_f16_e32 v23, v112, v113
	v_fmac_f16_e32 v3, -0.5, v27
	v_fmamk_f16 v25, v31, 0xbb9c, v29
	v_sub_f16_e32 v27, v7, v8
	v_sub_f16_e32 v100, v107, v11
	v_fmac_f16_e32 v29, 0x3b9c, v31
	v_fmamk_f16 v109, v23, 0x3b9c, v3
	v_fmac_f16_e32 v25, 0xb8b4, v23
	v_sub_f16_e32 v115, v8, v7
	v_add_f16_e32 v27, v27, v100
	v_fmac_f16_e32 v29, 0x38b4, v23
	v_sub_f16_e32 v116, v11, v107
	v_fmac_f16_e32 v3, 0xbb9c, v23
	v_add_f16_e32 v23, v112, v113
	v_fmac_f16_e32 v25, 0x34f2, v27
	v_fmac_f16_e32 v29, 0x34f2, v27
	v_add_f16_e32 v27, v114, v111
	v_fmac_f16_e32 v109, 0xb8b4, v31
	v_add_f16_e32 v100, v115, v116
	v_fmac_f16_e32 v3, 0x38b4, v31
	v_fma_f16 v23, -0.5, v23, v110
	v_sub_f16_e32 v7, v7, v107
	v_add_f16_e32 v31, v110, v114
	v_sub_f16_e32 v8, v8, v11
	v_fmac_f16_e32 v110, -0.5, v27
	v_fmac_f16_e32 v109, 0x34f2, v100
	v_fmac_f16_e32 v3, 0x34f2, v100
	v_fmamk_f16 v11, v7, 0x3b9c, v23
	v_sub_f16_e32 v27, v114, v112
	v_sub_f16_e32 v100, v111, v113
	v_fmamk_f16 v107, v8, 0xbb9c, v110
	v_sub_f16_e32 v114, v112, v114
	v_sub_f16_e32 v115, v113, v111
	v_fmac_f16_e32 v110, 0x3b9c, v8
	v_fmac_f16_e32 v11, 0x38b4, v8
	v_add_f16_e32 v27, v27, v100
	v_fmac_f16_e32 v107, 0x38b4, v7
	v_add_f16_e32 v100, v114, v115
	v_fmac_f16_e32 v110, 0xb8b4, v7
	v_fmac_f16_e32 v23, 0xbb9c, v7
	;; [unrolled: 1-line block ×3, first 2 shown]
	v_add_f16_e32 v7, v31, v112
	v_fmac_f16_e32 v107, 0x34f2, v100
	v_fmac_f16_e32 v110, 0x34f2, v100
	v_fmac_f16_e32 v23, 0xb8b4, v8
	v_mul_f16_e32 v8, 0xb8b4, v11
	v_add_f16_e32 v7, v7, v113
	v_mul_f16_e32 v115, 0xbb9c, v107
	v_mul_f16_e32 v117, 0xbb9c, v110
	v_fmac_f16_e32 v23, 0x34f2, v27
	v_fmac_f16_e32 v8, 0x3a79, v25
	v_mul_f16_e64 v132, 0xb4f2, v110
	v_fmac_f16_e32 v115, 0x34f2, v109
	v_fmac_f16_e32 v117, 0xb4f2, v3
	v_mul_f16_e32 v123, 0xb8b4, v23
	v_add_f16_e32 v7, v7, v111
	v_add_f16_e32 v112, v127, v8
	;; [unrolled: 1-line block ×4, first 2 shown]
	v_fmac_f16_e32 v123, 0xba79, v29
	v_mul_f16_e32 v11, 0x3a79, v11
	v_mul_f16_e64 v133, 0xba79, v23
	v_fmac_f16_e64 v132, 0x3b9c, v3
	v_sub_f16_e32 v111, v127, v8
	v_add_f16_e32 v3, v10, v106
	v_sub_f16_e32 v116, v125, v115
	v_sub_f16_e32 v115, v2, v117
	v_add_f16_e32 v2, v9, v13
	v_add_f16_e32 v127, v13, v108
	v_add_f16_e64 v27, v128, v103
	v_mul_f16_e64 v131, 0x3b9c, v109
	v_add_f16_e32 v109, v124, v123
	v_fmac_f16_e32 v11, 0x38b4, v25
	v_fmac_f16_e64 v133, 0x38b4, v29
	v_add_f16_e64 v23, v129, v7
	v_sub_f16_e64 v110, v128, v103
	v_sub_f16_e32 v117, v124, v123
	v_fma_f16 v123, -0.5, v3, v9
	v_sub_f16_e32 v8, v118, v121
	v_sub_f16_e64 v103, v129, v7
	v_add_f16_e32 v3, v2, v10
	v_sub_f16_e32 v7, v119, v120
	v_sub_f16_e32 v124, v13, v10
	;; [unrolled: 1-line block ×3, first 2 shown]
	v_fmac_f16_e32 v9, -0.5, v127
	v_add_f16_e32 v25, v105, v11
	v_add_f16_e64 v100, v122, v132
	v_add_f16_e64 v29, v126, v133
	v_sub_f16_e32 v105, v105, v11
	v_fmamk_f16 v11, v8, 0xbb9c, v123
	v_sub_f16_e64 v2, v122, v132
	v_add_f16_e32 v122, v3, v106
	v_add_f16_e32 v124, v124, v125
	v_sub_f16_e64 v3, v126, v133
	v_fmac_f16_e32 v123, 0x3b9c, v8
	v_fmamk_f16 v125, v7, 0x3b9c, v9
	v_sub_f16_e32 v126, v10, v13
	v_sub_f16_e32 v127, v106, v108
	v_add_f16_e64 v128, v12, v118
	v_add_f16_e64 v129, v119, v120
	v_fmac_f16_e32 v9, 0xbb9c, v7
	v_fmac_f16_e32 v11, 0xb8b4, v7
	;; [unrolled: 1-line block ×4, first 2 shown]
	v_add_f16_e32 v126, v126, v127
	v_add_f16_e64 v7, v128, v119
	v_fma_f16 v127, -0.5, v129, v12
	v_sub_f16_e32 v13, v13, v108
	v_fmac_f16_e32 v9, 0x38b4, v8
	v_add_f16_e32 v8, v118, v121
	v_add_f16_e32 v122, v122, v108
	v_fmac_f16_e32 v11, 0x34f2, v124
	v_fmac_f16_e32 v123, 0x34f2, v124
	v_add_f16_e32 v7, v7, v120
	v_fmamk_f16 v108, v13, 0x3b9c, v127
	v_sub_f16_e32 v10, v10, v106
	v_sub_f16_e32 v106, v118, v119
	;; [unrolled: 1-line block ×3, first 2 shown]
	v_fmac_f16_e32 v12, -0.5, v8
	v_fmac_f16_e32 v127, 0xbb9c, v13
	v_sub_f16_e32 v8, v119, v118
	v_sub_f16_e32 v118, v120, v121
	v_add_f16_e32 v119, v4, v5
	v_fmac_f16_e32 v125, 0x34f2, v126
	v_fmac_f16_e32 v9, 0x34f2, v126
	v_add_f16_e32 v126, v7, v121
	v_fmac_f16_e32 v108, 0x38b4, v10
	v_add_f16_e32 v7, v106, v124
	v_fmamk_f16 v106, v10, 0xbb9c, v12
	v_fmac_f16_e32 v127, 0xb8b4, v10
	v_add_f16_e32 v8, v8, v118
	v_fmac_f16_e32 v12, 0x3b9c, v10
	v_add_f16_e32 v10, v119, v6
	v_add_f16_e32 v118, v6, v96
	v_fmac_f16_e32 v108, 0x34f2, v7
	v_fmac_f16_e32 v106, 0x38b4, v13
	;; [unrolled: 1-line block ×4, first 2 shown]
	v_add_f16_e32 v7, v10, v96
	v_fma_f16 v10, -0.5, v118, v4
	v_add_f16_e32 v13, v5, v97
	v_sub_f16_e32 v118, v104, v99
	v_fmac_f16_e32 v106, 0x34f2, v8
	v_fmac_f16_e32 v12, 0x34f2, v8
	v_add_f16_e32 v119, v7, v97
	v_sub_f16_e32 v7, v101, v102
	v_fmac_f16_e32 v4, -0.5, v13
	v_fmamk_f16 v8, v118, 0xbb9c, v10
	v_sub_f16_e32 v13, v5, v6
	v_sub_f16_e32 v120, v97, v96
	v_fmac_f16_e32 v10, 0x3b9c, v118
	v_fmamk_f16 v121, v7, 0x3b9c, v4
	v_fmac_f16_e32 v8, 0xb8b4, v7
	v_sub_f16_e32 v124, v6, v5
	v_add_f16_e32 v13, v13, v120
	v_fmac_f16_e32 v10, 0x38b4, v7
	v_sub_f16_e64 v128, v96, v97
	v_fmac_f16_e32 v4, 0xbb9c, v7
	v_add_f16_e32 v7, v101, v102
	v_fmac_f16_e32 v8, 0x34f2, v13
	v_fmac_f16_e32 v10, 0x34f2, v13
	v_add_f16_e32 v13, v104, v99
	v_fmac_f16_e32 v121, 0xb8b4, v118
	v_add_f16_e64 v120, v124, v128
	v_fmac_f16_e32 v4, 0x38b4, v118
	v_fma_f16 v7, -0.5, v7, v98
	v_sub_f16_e32 v5, v5, v97
	v_add_f16_e32 v97, v98, v104
	v_sub_f16_e32 v6, v6, v96
	v_fmac_f16_e32 v98, -0.5, v13
	v_fmac_f16_e32 v121, 0x34f2, v120
	v_fmac_f16_e32 v4, 0x34f2, v120
	v_fmamk_f16 v13, v5, 0x3b9c, v7
	v_sub_f16_e32 v96, v104, v101
	v_sub_f16_e32 v118, v99, v102
	v_fmamk_f16 v120, v6, 0xbb9c, v98
	v_sub_f16_e32 v104, v101, v104
	v_sub_f16_e32 v124, v102, v99
	v_fmac_f16_e32 v98, 0x3b9c, v6
	v_fmac_f16_e32 v7, 0xbb9c, v5
	v_add_f16_e32 v96, v96, v118
	v_fmac_f16_e32 v120, 0x38b4, v5
	v_add_f16_e32 v104, v104, v124
	v_fmac_f16_e32 v98, 0xb8b4, v5
	v_add_f16_e32 v5, v97, v101
	v_fmac_f16_e32 v7, 0xb8b4, v6
	v_fmac_f16_e32 v13, 0x38b4, v6
	;; [unrolled: 1-line block ×4, first 2 shown]
	v_add_f16_e32 v5, v5, v102
	v_fmac_f16_e32 v7, 0x34f2, v96
	v_fmac_f16_e32 v13, 0x34f2, v96
	v_mul_f16_e32 v101, 0xbb9c, v120
	v_fmac_f16_e64 v131, 0x34f2, v107
	v_add_f16_e32 v96, v5, v99
	v_mul_f16_e32 v99, 0xb8b4, v7
	v_mul_f16_e64 v129, 0xba79, v7
	v_mul_f16_e32 v97, 0xb8b4, v13
	v_mul_f16_e32 v102, 0xbb9c, v98
	v_fmac_f16_e32 v101, 0x34f2, v121
	v_fmac_f16_e32 v99, 0xba79, v10
	v_mul_f16_e32 v13, 0x3a79, v13
	v_mul_f16_e32 v121, 0x3b9c, v121
	v_fmac_f16_e64 v129, 0x38b4, v10
	v_add_f16_e32 v10, v89, v90
	v_add_f16_e64 v31, v130, v131
	v_sub_f16_e64 v107, v130, v131
	v_fmac_f16_e32 v97, 0x3a79, v8
	v_fmac_f16_e32 v102, 0xb4f2, v4
	v_add_f16_e32 v104, v122, v119
	v_mul_f16_e32 v98, 0xb4f2, v98
	v_add_f16_e64 v130, v123, v99
	v_fmac_f16_e32 v13, 0x38b4, v8
	v_fmac_f16_e32 v121, 0x34f2, v120
	v_sub_f16_e32 v119, v122, v119
	v_sub_f16_e32 v99, v123, v99
	v_add_f16_e32 v120, v14, v88
	v_fma_f16 v122, -0.5, v10, v14
	v_sub_f16_e32 v123, v91, v95
	v_add_f16_e32 v118, v11, v97
	v_add_f16_e64 v128, v9, v102
	v_fmac_f16_e32 v98, 0x3b9c, v4
	v_add_f16_e32 v4, v126, v96
	v_add_f16_e32 v6, v108, v13
	;; [unrolled: 1-line block ×3, first 2 shown]
	v_sub_f16_e32 v97, v11, v97
	v_sub_f16_e32 v102, v9, v102
	;; [unrolled: 1-line block ×5, first 2 shown]
	v_add_f16_e32 v13, v120, v89
	v_fmamk_f16 v96, v123, 0xbb9c, v122
	v_sub_f16_e32 v106, v92, v93
	v_sub_f16_e32 v108, v88, v89
	;; [unrolled: 1-line block ×3, first 2 shown]
	v_add_f16_e32 v121, v88, v94
	v_fmac_f16_e32 v122, 0x3b9c, v123
	v_add_f16_e32 v124, v125, v101
	v_add_f16_e32 v8, v12, v98
	v_add_f16_e64 v5, v127, v129
	v_sub_f16_e32 v101, v125, v101
	v_sub_f16_e32 v12, v12, v98
	v_add_f16_e32 v98, v13, v90
	v_fmac_f16_e32 v96, 0xb8b4, v106
	v_add_f16_e32 v108, v108, v120
	v_fmac_f16_e32 v14, -0.5, v121
	v_sub_f16_e64 v13, v127, v129
	v_sub_f16_e32 v121, v89, v88
	v_sub_f16_e32 v125, v90, v94
	v_fmac_f16_e32 v122, 0x38b4, v106
	v_add_f16_e32 v126, v16, v91
	v_add_f16_e32 v127, v92, v93
	v_fmac_f16_e32 v96, 0x34f2, v108
	v_fmamk_f16 v120, v106, 0x3b9c, v14
	v_add_f16_e32 v121, v121, v125
	v_fmac_f16_e32 v14, 0xbb9c, v106
	v_add_f16_e32 v106, v126, v92
	v_fma_f16 v125, -0.5, v127, v16
	v_sub_f16_e32 v88, v88, v94
	v_fmac_f16_e32 v122, 0x34f2, v108
	v_add_f16_e32 v108, v91, v95
	v_add_f16_e32 v98, v98, v94
	v_fmac_f16_e32 v120, 0xb8b4, v123
	v_fmac_f16_e32 v14, 0x38b4, v123
	v_add_f16_e32 v94, v106, v93
	v_fmamk_f16 v106, v88, 0x3b9c, v125
	v_sub_f16_e32 v89, v89, v90
	v_sub_f16_e32 v90, v91, v92
	;; [unrolled: 1-line block ×3, first 2 shown]
	v_fmac_f16_e32 v16, -0.5, v108
	v_fmac_f16_e32 v125, 0xbb9c, v88
	v_fmac_f16_e32 v106, 0x38b4, v89
	v_sub_f16_e32 v91, v92, v91
	v_add_f16_e32 v90, v90, v123
	v_fmamk_f16 v108, v89, 0xbb9c, v16
	v_sub_f16_e32 v92, v93, v95
	v_add_f16_e32 v93, v15, v17
	v_fmac_f16_e32 v125, 0xb8b4, v89
	v_fmac_f16_e32 v16, 0x3b9c, v89
	;; [unrolled: 1-line block ×4, first 2 shown]
	v_add_f16_e32 v91, v91, v92
	v_add_f16_e32 v89, v93, v19
	v_add_f16_e32 v92, v19, v20
	v_fmac_f16_e32 v125, 0x34f2, v90
	v_fmac_f16_e32 v16, 0xb8b4, v88
	v_add_f16_e32 v90, v17, v47
	v_fmac_f16_e32 v108, 0x34f2, v91
	v_add_f16_e32 v88, v89, v20
	v_fma_f16 v89, -0.5, v92, v15
	v_sub_f16_e32 v92, v87, v21
	v_fmac_f16_e32 v16, 0x34f2, v91
	v_sub_f16_e32 v91, v43, v45
	v_fmac_f16_e32 v15, -0.5, v90
	v_fmac_f16_e32 v120, 0x34f2, v121
	v_fmac_f16_e32 v14, 0x34f2, v121
	v_fmamk_f16 v90, v92, 0xbb9c, v89
	v_fmac_f16_e32 v89, 0x3b9c, v92
	v_fmamk_f16 v121, v91, 0x3b9c, v15
	v_fmac_f16_e32 v15, 0xbb9c, v91
	v_add_f16_e32 v94, v94, v95
	v_sub_f16_e32 v93, v17, v19
	v_sub_f16_e32 v95, v47, v20
	;; [unrolled: 1-line block ×4, first 2 shown]
	v_fmac_f16_e32 v90, 0xb8b4, v91
	v_fmac_f16_e32 v89, 0x38b4, v91
	;; [unrolled: 1-line block ×3, first 2 shown]
	v_add_f16_e32 v91, v43, v45
	v_fmac_f16_e32 v15, 0x38b4, v92
	v_add_f16_e32 v92, v87, v21
	v_add_f16_e32 v88, v88, v47
	;; [unrolled: 1-line block ×4, first 2 shown]
	v_fma_f16 v91, -0.5, v91, v18
	v_sub_f16_e32 v17, v17, v47
	v_add_f16_e32 v47, v18, v87
	v_sub_f16_e32 v19, v19, v20
	v_fmac_f16_e32 v18, -0.5, v92
	v_fmac_f16_e32 v90, 0x34f2, v93
	v_fmac_f16_e32 v89, 0x34f2, v93
	;; [unrolled: 1-line block ×4, first 2 shown]
	v_fmamk_f16 v20, v17, 0x3b9c, v91
	v_sub_f16_e32 v92, v87, v43
	v_sub_f16_e32 v93, v21, v45
	v_fmamk_f16 v95, v19, 0xbb9c, v18
	v_sub_f16_e32 v87, v43, v87
	v_sub_f16_e32 v123, v45, v21
	v_fmac_f16_e32 v18, 0x3b9c, v19
	v_fmac_f16_e32 v91, 0xbb9c, v17
	;; [unrolled: 1-line block ×3, first 2 shown]
	v_add_f16_e32 v92, v92, v93
	v_fmac_f16_e32 v95, 0x38b4, v17
	v_add_f16_e32 v87, v87, v123
	v_fmac_f16_e32 v18, 0xb8b4, v17
	v_fmac_f16_e32 v91, 0xb8b4, v19
	v_add_f16_e32 v17, v47, v43
	v_fmac_f16_e32 v20, 0x34f2, v92
	v_fmac_f16_e32 v95, 0x34f2, v87
	;; [unrolled: 1-line block ×4, first 2 shown]
	v_add_f16_e32 v17, v17, v45
	v_mul_f16_e32 v93, 0x3a79, v20
	v_mul_f16_e32 v45, 0xbb9c, v95
	;; [unrolled: 1-line block ×6, first 2 shown]
	v_add_f16_e32 v21, v17, v21
	v_fmac_f16_e32 v45, 0x34f2, v121
	v_fmac_f16_e32 v47, 0xb4f2, v15
	;; [unrolled: 1-line block ×3, first 2 shown]
	v_mul_f16_e32 v121, 0x3b9c, v121
	v_mul_f16_e64 v129, 0xb4f2, v18
	v_fmac_f16_e32 v93, 0x38b4, v90
	v_fmac_f16_e32 v91, 0x38b4, v89
	v_mul_u32_u24_e32 v89, 10, v0
	v_fmac_f16_e32 v43, 0x3a79, v90
	v_add_f16_e32 v127, v14, v47
	v_fmac_f16_e32 v121, 0x34f2, v95
	v_fmac_f16_e64 v129, 0x3b9c, v15
	v_add_f16_e32 v15, v94, v21
	v_add_f16_e32 v17, v106, v93
	v_sub_f16_e32 v90, v14, v47
	v_sub_f16_e32 v14, v94, v21
	;; [unrolled: 1-line block ×3, first 2 shown]
	v_lshl_add_u32 v93, v89, 1, 0
	v_pack_b32_f16 v89, v113, v114
	v_pack_b32_f16 v95, v27, v112
	v_mul_i32_i24_e32 v106, 10, v36
	v_add_f16_e32 v18, v125, v91
	v_sub_f16_e32 v94, v125, v91
	v_pack_b32_f16 v91, v109, v110
	ds_store_2addr_b32 v93, v95, v89 offset1:1
	v_pack_b32_f16 v89, v111, v116
	v_add_f16_e32 v92, v98, v88
	v_sub_f16_e32 v88, v98, v88
	v_pack_b32_f16 v98, v115, v117
	v_add_f16_e32 v123, v96, v43
	v_add_f16_e32 v126, v120, v45
	v_pack_b32_f16 v132, v23, v25
	v_mul_i32_i24_e32 v25, 10, v33
	v_add_f16_e64 v131, v122, v87
	v_sub_f16_e32 v43, v96, v43
	v_sub_f16_e32 v45, v120, v45
	v_add_f16_e64 v20, v16, v129
	v_sub_f16_e32 v87, v122, v87
	v_sub_f16_e64 v16, v16, v129
	v_pack_b32_f16 v129, v31, v100
	v_pack_b32_f16 v96, v29, v103
	v_lshl_add_u32 v23, v106, 1, 0
	v_pack_b32_f16 v29, v124, v128
	v_pack_b32_f16 v31, v104, v118
	ds_store_2addr_b32 v93, v91, v89 offset0:2 offset1:3
	ds_store_b32 v93, v98 offset:16
	v_pack_b32_f16 v89, v97, v101
	v_pack_b32_f16 v91, v130, v119
	v_pack_b32_f16 v97, v102, v99
	v_lshl_add_u32 v25, v25, 1, 0
	v_pack_b32_f16 v98, v126, v127
	v_pack_b32_f16 v92, v92, v123
	;; [unrolled: 1-line block ×5, first 2 shown]
	ds_store_2addr_b32 v23, v31, v29 offset1:1
	ds_store_2addr_b32 v23, v91, v89 offset0:2 offset1:3
	ds_store_b32 v23, v97 offset:16
	ds_store_2addr_b32 v25, v92, v98 offset1:1
	ds_store_2addr_b32 v25, v45, v43 offset0:2 offset1:3
	ds_store_b32 v25, v87 offset:16
	v_mul_lo_u16 v97, 0x67, v0
	v_mad_i32_i24 v27, 0xffffffee, v0, v93
	v_pack_b32_f16 v95, v105, v107
	v_lshl_add_u32 v29, v65, 1, 0
	v_mad_i32_i24 v43, 0xffffffee, v33, v25
	v_lshrrev_b16 v97, 10, v97
	v_pack_b32_f16 v2, v2, v3
	v_lshl_add_u32 v31, v41, 1, 0
	v_mad_i32_i24 v45, 0xffffffee, v36, v23
	v_lshl_add_u32 v87, v57, 1, 0
	v_mul_lo_u16 v98, v97, 10
	v_lshl_add_u32 v88, v67, 1, 0
	v_add_f16_e32 v19, v108, v121
	v_sub_f16_e32 v47, v108, v121
	global_wb scope:SCOPE_SE
	s_wait_dscnt 0x0
	v_sub_nc_u16 v98, v0, v98
	s_barrier_signal -1
	s_barrier_wait -1
	global_inv scope:SCOPE_SE
	ds_load_u16 v119, v29
	ds_load_u16 v118, v31
	;; [unrolled: 1-line block ×4, first 2 shown]
	ds_load_u16 v111, v27 offset:1536
	ds_load_u16 v107, v27 offset:1792
	;; [unrolled: 1-line block ×8, first 2 shown]
	ds_load_u16 v92, v43
	ds_load_u16 v100, v45
	;; [unrolled: 1-line block ×3, first 2 shown]
	ds_load_u16 v120, v27 offset:3072
	ds_load_u16 v122, v27 offset:2816
	;; [unrolled: 1-line block ×15, first 2 shown]
	global_wb scope:SCOPE_SE
	s_wait_dscnt 0x0
	s_barrier_signal -1
	s_barrier_wait -1
	global_inv scope:SCOPE_SE
	ds_store_2addr_b32 v93, v132, v129 offset1:1
	ds_store_2addr_b32 v93, v96, v95 offset0:2 offset1:3
	ds_store_b32 v93, v2 offset:16
	v_pack_b32_f16 v3, v7, v8
	v_pack_b32_f16 v4, v4, v6
	v_and_b32_e32 v93, 0xff, v36
	v_and_b32_e32 v97, 0xffff, v97
	;; [unrolled: 1-line block ×3, first 2 shown]
	v_pack_b32_f16 v8, v10, v11
	v_pack_b32_f16 v5, v5, v9
	;; [unrolled: 1-line block ×3, first 2 shown]
	ds_store_2addr_b32 v23, v4, v3 offset1:1
	ds_store_2addr_b32 v23, v5, v8 offset0:2 offset1:3
	ds_store_b32 v23, v9 offset:16
	v_mul_lo_u16 v4, 0xcd, v93
	v_mul_u32_u24_e32 v6, 0x78, v97
	v_lshlrev_b32_e32 v7, 1, v98
	v_pack_b32_f16 v2, v19, v20
	v_pack_b32_f16 v3, v15, v17
	v_lshrrev_b16 v134, 11, v4
	v_pack_b32_f16 v5, v21, v47
	v_add3_u32 v97, 0, v6, v7
	v_pack_b32_f16 v6, v18, v14
	v_pack_b32_f16 v7, v16, v94
	ds_store_2addr_b32 v25, v3, v2 offset1:1
	ds_store_2addr_b32 v25, v6, v5 offset0:2 offset1:3
	ds_store_b32 v25, v7 offset:16
	v_mul_lo_u16 v2, v134, 10
	v_and_b32_e32 v95, 0xffff, v33
	v_mul_u32_u24_e32 v8, 5, v98
	global_wb scope:SCOPE_SE
	s_wait_dscnt 0x0
	s_barrier_signal -1
	v_sub_nc_u16 v2, v36, v2
	s_barrier_wait -1
	v_lshlrev_b32_e32 v96, 2, v8
	global_inv scope:SCOPE_SE
	v_and_b32_e32 v47, 0xffff, v57
	v_and_b32_e32 v138, 0xff, v2
	v_mul_u32_u24_e32 v2, 0xcccd, v95
	global_load_b128 v[18:21], v96, s[4:5]
	v_and_b32_e32 v94, 0xffff, v67
	v_mul_lo_u16 v93, 0x89, v93
	v_mul_u32_u24_e32 v3, 5, v138
	v_lshrrev_b32_e32 v136, 19, v2
	v_mul_u32_u24_e32 v95, 0x8889, v95
	v_cmp_gt_u32_e64 s0, 0x78, v0
	s_delay_alu instid0(VALU_DEP_4) | instskip(NEXT) | instid1(VALU_DEP_4)
	v_lshlrev_b32_e32 v98, 2, v3
	v_mul_lo_u16 v2, v136, 10
	global_load_b128 v[14:17], v98, s[4:5]
	v_sub_nc_u16 v2, v33, v2
	s_delay_alu instid0(VALU_DEP_1) | instskip(SKIP_1) | instid1(VALU_DEP_2)
	v_and_b32_e32 v137, 0xffff, v2
	v_mul_u32_u24_e32 v2, 0xcccd, v47
	v_mul_u32_u24_e32 v3, 5, v137
	s_delay_alu instid0(VALU_DEP_2) | instskip(NEXT) | instid1(VALU_DEP_2)
	v_lshrrev_b32_e32 v131, 19, v2
	v_lshlrev_b32_e32 v99, 2, v3
	s_delay_alu instid0(VALU_DEP_2) | instskip(SKIP_4) | instid1(VALU_DEP_2)
	v_mul_lo_u16 v2, v131, 10
	v_mul_u32_u24_e32 v3, 0xcccd, v94
	global_load_b128 v[10:13], v99, s[4:5]
	v_sub_nc_u16 v2, v57, v2
	v_lshrrev_b32_e32 v129, 19, v3
	v_and_b32_e32 v132, 0xffff, v2
	s_delay_alu instid0(VALU_DEP_1) | instskip(NEXT) | instid1(VALU_DEP_1)
	v_mul_u32_u24_e32 v2, 5, v132
	v_lshlrev_b32_e32 v126, 2, v2
	s_delay_alu instid0(VALU_DEP_4) | instskip(SKIP_2) | instid1(VALU_DEP_1)
	v_mul_lo_u16 v2, v129, 10
	global_load_b128 v[6:9], v126, s[4:5]
	v_sub_nc_u16 v2, v67, v2
	v_and_b32_e32 v130, 0xffff, v2
	s_delay_alu instid0(VALU_DEP_1) | instskip(NEXT) | instid1(VALU_DEP_1)
	v_mul_u32_u24_e32 v2, 5, v130
	v_lshlrev_b32_e32 v127, 2, v2
	s_clause 0x5
	global_load_b128 v[2:5], v127, s[4:5]
	global_load_b32 v140, v96, s[4:5] offset:16
	global_load_b32 v135, v98, s[4:5] offset:16
	;; [unrolled: 1-line block ×5, first 2 shown]
	ds_load_u16 v144, v29
	ds_load_u16 v145, v31
	ds_load_u16 v146, v27 offset:2816
	ds_load_u16 v147, v27 offset:5376
	ds_load_u16 v148, v27 offset:3840
	ds_load_u16 v149, v27 offset:4096
	ds_load_u16 v143, v27 offset:4352
	ds_load_u16 v127, v27 offset:4608
	ds_load_u16 v98, v87
	ds_load_u16 v96, v88
	ds_load_u16 v150, v27 offset:5120
	ds_load_u16 v141, v27 offset:4864
	;; [unrolled: 1-line block ×3, first 2 shown]
	ds_load_u16 v99, v43
	ds_load_u16 v126, v45
	ds_load_u16 v156, v27 offset:1536
	s_wait_loadcnt 0x9
	v_lshrrev_b32_e32 v151, 16, v18
	v_lshrrev_b32_e32 v152, 16, v19
	;; [unrolled: 1-line block ×4, first 2 shown]
	s_wait_dscnt 0xf
	v_mul_f16_e64 v154, v144, v151
	v_mul_f16_e64 v151, v119, v151
	s_wait_dscnt 0xe
	v_mul_f16_e64 v155, v145, v152
	v_mul_f16_e64 v152, v118, v152
	v_fmac_f16_e64 v154, v119, v18
	v_fma_f16 v18, v144, v18, -v151
	s_delay_alu instid0(VALU_DEP_4)
	v_fmac_f16_e64 v155, v118, v19
	s_wait_dscnt 0xb
	v_mul_f16_e64 v144, v148, v153
	v_mul_f16_e64 v118, v125, v153
	s_wait_loadcnt 0x8
	v_lshrrev_b32_e32 v119, 16, v14
	v_fma_f16 v19, v145, v19, -v152
	ds_load_u16 v151, v27 offset:1792
	ds_load_u16 v152, v27 offset:2048
	s_wait_dscnt 0x7
	v_mul_f16_e64 v145, v150, v157
	v_lshrrev_b32_e32 v159, 16, v15
	v_fmac_f16_e64 v144, v125, v20
	v_fma_f16 v20, v148, v20, -v118
	v_mul_f16_e64 v125, v124, v157
	s_wait_dscnt 0x2
	v_mul_f16_e64 v118, v156, v119
	v_mul_f16_e32 v119, v111, v119
	v_fmac_f16_e64 v145, v124, v21
	v_mul_f16_e64 v124, v122, v159
	ds_load_u16 v148, v27 offset:3072
	ds_load_u16 v153, v27 offset:3328
	;; [unrolled: 1-line block ×3, first 2 shown]
	ds_load_u16 v158, v27
	v_fma_f16 v21, v150, v21, -v125
	v_fmac_f16_e32 v118, v111, v14
	v_mul_f16_e64 v111, v146, v159
	v_lshrrev_b32_e32 v125, 16, v16
	v_fma_f16 v119, v156, v14, -v119
	v_lshrrev_b32_e32 v14, 16, v17
	v_fma_f16 v124, v146, v15, -v124
	ds_load_u16 v146, v27 offset:5632
	v_fmac_f16_e32 v111, v122, v15
	v_mul_f16_e64 v156, v149, v125
	v_mul_f16_e32 v15, v123, v125
	v_mul_f16_e64 v122, v147, v14
	v_mul_f16_e32 v14, v121, v14
	s_wait_loadcnt 0x7
	v_lshrrev_b32_e32 v125, 16, v10
	v_fmac_f16_e64 v156, v123, v16
	v_fma_f16 v149, v149, v16, -v15
	v_fmac_f16_e32 v122, v121, v17
	v_fma_f16 v121, v147, v17, -v14
	s_wait_dscnt 0x6
	v_mul_f16_e64 v14, v151, v125
	v_lshrrev_b32_e32 v15, 16, v11
	v_lshrrev_b32_e32 v17, 16, v12
	v_mul_f16_e32 v123, v107, v125
	s_delay_alu instid0(VALU_DEP_4) | instskip(NEXT) | instid1(VALU_DEP_4)
	v_fmac_f16_e32 v14, v107, v10
	v_mul_f16_e32 v107, v120, v15
	s_delay_alu instid0(VALU_DEP_4)
	v_mul_f16_e64 v159, v143, v17
	s_wait_dscnt 0x4
	v_mul_f16_e64 v16, v148, v15
	v_mul_f16_e32 v125, v106, v17
	v_fma_f16 v15, v151, v10, -v123
	v_lshrrev_b32_e32 v10, 16, v13
	v_fma_f16 v17, v148, v11, -v107
	v_fmac_f16_e64 v159, v106, v12
	ds_load_u16 v106, v27 offset:6912
	ds_load_u16 v107, v27 offset:7168
	;; [unrolled: 1-line block ×7, first 2 shown]
	v_fmac_f16_e32 v16, v120, v11
	s_wait_loadcnt 0x6
	v_lshrrev_b32_e32 v11, 16, v6
	s_wait_dscnt 0x7
	v_mul_f16_e64 v123, v146, v10
	v_fma_f16 v161, v143, v12, -v125
	v_mul_f16_e32 v12, v105, v10
	v_lshrrev_b32_e32 v120, 16, v7
	v_mul_f16_e64 v10, v152, v11
	v_fmac_f16_e32 v123, v105, v13
	v_mul_f16_e32 v11, v104, v11
	v_fma_f16 v125, v146, v13, -v12
	v_mul_f16_e64 v12, v153, v120
	v_lshrrev_b32_e32 v13, 16, v8
	v_fmac_f16_e32 v10, v104, v6
	v_fma_f16 v11, v152, v6, -v11
	v_mul_f16_e32 v6, v103, v120
	v_lshrrev_b32_e32 v104, 16, v9
	v_fmac_f16_e32 v12, v103, v7
	v_mul_f16_e32 v103, v127, v13
	v_mul_f16_e32 v105, v102, v13
	v_fma_f16 v120, v153, v7, -v6
	s_wait_dscnt 0x3
	v_mul_f16_e64 v13, v148, v104
	s_wait_loadcnt 0x5
	v_lshrrev_b32_e32 v7, 16, v2
	v_fmac_f16_e32 v103, v102, v8
	v_fma_f16 v102, v127, v8, -v105
	v_mul_f16_e32 v8, v101, v104
	v_fmac_f16_e32 v13, v101, v9
	v_mul_f16_e64 v6, v157, v7
	v_lshrrev_b32_e32 v101, 16, v3
	v_mul_f16_e32 v7, v115, v7
	v_fma_f16 v127, v148, v9, -v8
	v_lshrrev_b32_e32 v9, 16, v4
	v_fmac_f16_e32 v6, v115, v2
	v_mul_f16_e64 v8, v142, v101
	v_fma_f16 v7, v157, v2, -v7
	v_mul_f16_e32 v2, v116, v101
	v_mul_f16_e64 v104, v141, v9
	v_lshrrev_b32_e32 v101, 16, v5
	v_mul_f16_e32 v105, v113, v9
	v_fmac_f16_e32 v8, v116, v3
	v_fma_f16 v9, v142, v3, -v2
	v_fmac_f16_e32 v104, v113, v4
	s_wait_dscnt 0x2
	v_mul_f16_e64 v113, v150, v101
	s_wait_loadcnt 0x4
	v_lshrrev_b32_e32 v2, 16, v140
	v_fma_f16 v3, v141, v4, -v105
	v_mul_f16_e32 v4, v117, v101
	s_wait_loadcnt 0x3
	v_lshrrev_b32_e32 v101, 16, v135
	v_fmac_f16_e32 v113, v117, v5
	s_wait_dscnt 0x0
	v_mul_f16_e64 v105, v160, v2
	v_mul_f16_e32 v2, v114, v2
	v_fma_f16 v115, v150, v5, -v4
	v_mul_f16_e64 v4, v151, v101
	s_wait_loadcnt 0x2
	v_lshrrev_b32_e32 v5, 16, v133
	v_fmac_f16_e64 v105, v114, v140
	v_mul_f16_e32 v101, v112, v101
	s_wait_loadcnt 0x1
	v_lshrrev_b32_e32 v114, 16, v128
	v_fmac_f16_e64 v4, v112, v135
	v_mul_f16_e32 v112, v106, v5
	v_mul_f16_e32 v5, v110, v5
	v_fma_f16 v135, v151, v135, -v101
	s_wait_loadcnt 0x0
	v_lshrrev_b32_e32 v101, 16, v139
	v_mul_f16_e32 v116, v107, v114
	v_fmac_f16_e64 v112, v110, v133
	v_mul_f16_e32 v110, v109, v114
	v_fma_f16 v133, v106, v133, -v5
	v_add_f16_e64 v106, v155, v145
	v_fma_f16 v2, v160, v140, -v2
	v_mul_f16_e64 v5, v147, v101
	v_mul_f16_e32 v101, v108, v101
	v_fmac_f16_e64 v116, v109, v128
	v_fma_f16 v128, v107, v128, -v110
	v_add_f16_e64 v107, v91, v155
	v_fmac_f16_e32 v91, -0.5, v106
	v_sub_f16_e32 v106, v19, v21
	v_fmac_f16_e64 v5, v108, v139
	v_fma_f16 v110, v147, v139, -v101
	v_add_f16_e32 v101, v19, v21
	v_add_f16_e64 v19, v158, v19
	v_fmamk_f16 v108, v106, 0xbaee, v91
	v_fmac_f16_e32 v91, 0x3aee, v106
	v_add_f16_e32 v106, v20, v2
	v_fmac_f16_e64 v158, -0.5, v101
	v_add_f16_e64 v101, v107, v145
	v_sub_f16_e64 v107, v155, v145
	v_add_f16_e64 v109, v144, v105
	v_add_f16_e32 v114, v18, v20
	v_fmac_f16_e32 v18, -0.5, v106
	v_sub_f16_e64 v106, v144, v105
	v_add_f16_e32 v19, v19, v21
	v_fma_f16 v21, 0x3aee, v107, v158
	v_add_f16_e64 v117, v154, v144
	v_fmac_f16_e64 v154, -0.5, v109
	v_sub_f16_e32 v20, v20, v2
	v_fmac_f16_e64 v158, 0xbaee, v107
	v_fmamk_f16 v107, v106, 0x3aee, v18
	v_fmac_f16_e32 v18, 0xbaee, v106
	v_add_f16_e32 v105, v117, v105
	v_fma_f16 v106, 0xbaee, v20, v154
	v_fmac_f16_e64 v154, 0x3aee, v20
	v_mul_f16_e32 v20, 0xbaee, v107
	v_mul_f16_e32 v107, 0.5, v107
	v_mul_f16_e32 v109, 0xbaee, v18
	v_mul_f16_e32 v18, -0.5, v18
	v_add_f16_e32 v2, v114, v2
	v_fmac_f16_e32 v20, 0.5, v106
	v_fmac_f16_e32 v107, 0x3aee, v106
	v_add_f16_e32 v106, v101, v105
	v_fmac_f16_e64 v18, 0x3aee, v154
	v_sub_f16_e32 v105, v101, v105
	v_add_f16_e64 v148, v19, v2
	v_sub_f16_e32 v101, v19, v2
	v_add_f16_e64 v2, v149, v135
	v_add_f16_e64 v150, v21, v107
	v_sub_f16_e64 v146, v21, v107
	v_add_f16_e64 v152, v158, v18
	v_sub_f16_e64 v145, v158, v18
	v_add_f16_e32 v18, v111, v122
	v_add_f16_e64 v21, v156, v4
	v_add_f16_e64 v143, v119, v149
	v_fmac_f16_e32 v119, -0.5, v2
	v_sub_f16_e64 v2, v156, v4
	v_add_f16_e32 v19, v100, v111
	v_fmac_f16_e32 v100, -0.5, v18
	v_add_f16_e64 v18, v118, v156
	v_fmac_f16_e32 v118, -0.5, v21
	v_sub_f16_e64 v21, v149, v135
	v_fma_f16 v151, 0x3aee, v2, v119
	v_fmac_f16_e32 v119, 0xbaee, v2
	v_sub_f16_e32 v107, v124, v121
	v_add_f16_e32 v2, v18, v4
	v_fma_f16 v149, 0xbaee, v21, v118
	v_mul_f16_e64 v4, 0xbaee, v151
	v_fmac_f16_e32 v118, 0x3aee, v21
	v_mul_f16_e32 v18, 0xbaee, v119
	v_add_f16_e32 v19, v19, v122
	v_fmamk_f16 v21, v107, 0xbaee, v100
	v_fmac_f16_e64 v4, 0.5, v149
	v_fmac_f16_e32 v100, 0x3aee, v107
	v_fmac_f16_e32 v18, -0.5, v118
	v_fmac_f16_e64 v109, -0.5, v154
	v_add_f16_e32 v107, v19, v2
	v_sub_f16_e32 v2, v19, v2
	v_add_f16_e32 v19, v21, v4
	v_sub_f16_e32 v4, v21, v4
	;; [unrolled: 2-line block ×3, first 2 shown]
	v_add_f16_e64 v100, v161, v133
	v_add_f16_e32 v114, v108, v20
	v_sub_f16_e32 v20, v108, v20
	v_add_f16_e32 v108, v91, v109
	v_sub_f16_e32 v91, v91, v109
	v_add_f16_e32 v109, v16, v123
	v_add_f16_e64 v139, v159, v112
	v_add_f16_e64 v147, v15, v161
	v_fmac_f16_e32 v15, -0.5, v100
	v_sub_f16_e64 v100, v159, v112
	v_add_f16_e32 v117, v92, v16
	v_fmac_f16_e32 v92, -0.5, v109
	v_add_f16_e64 v109, v14, v159
	v_fmac_f16_e64 v14, -0.5, v139
	v_sub_f16_e64 v139, v161, v133
	v_fma_f16 v154, 0x3aee, v100, v15
	v_fmac_f16_e32 v15, 0xbaee, v100
	v_sub_f16_e64 v140, v17, v125
	v_add_f16_e32 v100, v109, v112
	v_fma_f16 v153, 0xbaee, v139, v14
	v_mul_f16_e64 v109, 0xbaee, v154
	v_fmac_f16_e64 v14, 0x3aee, v139
	v_mul_f16_e32 v112, 0xbaee, v15
	v_add_f16_e32 v117, v117, v123
	v_fma_f16 v139, 0xbaee, v140, v92
	v_fmac_f16_e64 v109, 0.5, v153
	v_fmac_f16_e64 v92, 0x3aee, v140
	v_fmac_f16_e32 v112, -0.5, v14
	v_add_f16_e64 v140, v117, v100
	v_sub_f16_e32 v100, v117, v100
	v_add_f16_e64 v117, v139, v109
	v_sub_f16_e64 v109, v139, v109
	v_add_f16_e64 v139, v92, v112
	v_sub_f16_e32 v92, v92, v112
	v_add_f16_e64 v112, v102, v128
	v_add_f16_e64 v144, v103, v116
	;; [unrolled: 1-line block ×4, first 2 shown]
	v_sub_f16_e64 v102, v102, v128
	v_fmac_f16_e32 v11, -0.5, v112
	v_sub_f16_e32 v112, v103, v116
	v_add_f16_e32 v103, v10, v103
	v_fmac_f16_e64 v10, -0.5, v144
	v_add_f16_e64 v142, v89, v12
	v_fmac_f16_e64 v89, -0.5, v141
	v_fma_f16 v157, 0x3aee, v112, v11
	v_fmac_f16_e32 v11, 0xbaee, v112
	v_sub_f16_e64 v141, v120, v127
	v_fma_f16 v156, 0xbaee, v102, v10
	v_fmac_f16_e32 v10, 0x3aee, v102
	v_mul_f16_e64 v112, 0xbaee, v157
	v_mul_f16_e32 v102, 0xbaee, v11
	v_add_f16_e32 v103, v103, v116
	v_add_f16_e64 v116, v142, v13
	v_fma_f16 v142, 0xbaee, v141, v89
	v_fmac_f16_e64 v112, 0.5, v156
	v_fmac_f16_e64 v89, 0x3aee, v141
	v_fmac_f16_e32 v102, -0.5, v10
	v_add_f16_e64 v141, v116, v103
	v_sub_f16_e32 v103, v116, v103
	v_add_f16_e64 v116, v142, v112
	v_sub_f16_e64 v112, v142, v112
	v_add_f16_e64 v142, v89, v102
	v_sub_f16_e32 v89, v89, v102
	v_add_f16_e32 v102, v3, v110
	v_add_f16_e64 v159, v104, v5
	v_add_f16_e64 v158, v7, v3
	;; [unrolled: 1-line block ×3, first 2 shown]
	v_sub_f16_e32 v3, v3, v110
	v_fmac_f16_e32 v7, -0.5, v102
	v_sub_f16_e32 v102, v104, v5
	v_add_f16_e32 v104, v6, v104
	v_fmac_f16_e64 v6, -0.5, v159
	v_add_f16_e64 v161, v90, v8
	v_fmac_f16_e64 v90, -0.5, v144
	v_fma_f16 v160, 0x3aee, v102, v7
	v_fmac_f16_e32 v7, 0xbaee, v102
	v_sub_f16_e64 v144, v9, v115
	v_fma_f16 v159, 0xbaee, v3, v6
	v_fmac_f16_e32 v6, 0x3aee, v3
	v_add_f16_e32 v5, v104, v5
	v_mul_f16_e32 v3, 0xbaee, v7
	v_add_f16_e64 v104, v161, v113
	v_fma_f16 v161, 0xbaee, v144, v90
	v_fmac_f16_e64 v90, 0x3aee, v144
	v_mul_f16_e64 v102, 0xbaee, v160
	v_fmac_f16_e32 v3, -0.5, v6
	global_wb scope:SCOPE_SE
	s_barrier_signal -1
	s_barrier_wait -1
	global_inv scope:SCOPE_SE
	v_add_f16_e64 v165, v90, v3
	v_sub_f16_e32 v3, v90, v3
	v_and_b32_e32 v90, 0xffff, v134
	ds_store_b16 v97, v106
	v_lshlrev_b32_e32 v106, 1, v138
	v_fmac_f16_e64 v102, 0.5, v159
	ds_store_b16 v97, v114 offset:20
	ds_store_b16 v97, v108 offset:40
	v_mul_u32_u24_e32 v90, 0x78, v90
	v_mul_u32_u24_e32 v108, 0x78, v136
	v_lshlrev_b32_e32 v114, 1, v137
	ds_store_b16 v97, v105 offset:60
	ds_store_b16 v97, v20 offset:80
	;; [unrolled: 1-line block ×3, first 2 shown]
	v_mul_u32_u24_e32 v20, 0x78, v131
	v_add3_u32 v164, 0, v90, v106
	v_lshlrev_b32_e32 v90, 1, v132
	v_add_f16_e64 v144, v104, v5
	v_sub_f16_e32 v5, v104, v5
	v_add_f16_e64 v104, v161, v102
	v_sub_f16_e64 v102, v161, v102
	v_add3_u32 v161, 0, v108, v114
	ds_store_b16 v164, v107
	ds_store_b16 v164, v19 offset:20
	ds_store_b16 v164, v21 offset:40
	ds_store_b16 v164, v2 offset:60
	ds_store_b16 v164, v4 offset:80
	ds_store_b16 v164, v18 offset:100
	v_mul_u32_u24_e32 v2, 0x78, v129
	v_lshlrev_b32_e32 v4, 1, v130
	v_add3_u32 v163, 0, v20, v90
	ds_store_b16 v161, v140
	ds_store_b16 v161, v117 offset:20
	ds_store_b16 v161, v139 offset:40
	;; [unrolled: 1-line block ×5, first 2 shown]
	v_lshl_add_u32 v90, v44, 1, 0
	v_lshl_add_u32 v91, v46, 1, 0
	v_add3_u32 v162, 0, v2, v4
	ds_store_b16 v163, v141
	ds_store_b16 v163, v116 offset:20
	ds_store_b16 v163, v142 offset:40
	;; [unrolled: 1-line block ×5, first 2 shown]
	ds_store_b16 v162, v144
	ds_store_b16 v162, v104 offset:20
	ds_store_b16 v162, v165 offset:40
	;; [unrolled: 1-line block ×5, first 2 shown]
	v_lshl_add_u32 v89, v42, 1, 0
	v_mul_lo_u16 v102, 0x89, v0
	global_wb scope:SCOPE_SE
	s_wait_dscnt 0x0
	s_barrier_signal -1
	s_barrier_wait -1
	global_inv scope:SCOPE_SE
	ds_load_u16 v2, v29
	v_lshl_add_u32 v18, v63, 1, 0
	v_lshl_add_u32 v19, v38, 1, 0
	;; [unrolled: 1-line block ×4, first 2 shown]
	ds_load_u16 v107, v27
	ds_load_u16 v132, v27 offset:3840
	ds_load_u16 v131, v27 offset:4096
	;; [unrolled: 1-line block ×7, first 2 shown]
	ds_load_u16 v100, v18
	ds_load_u16 v5, v19
	;; [unrolled: 1-line block ×7, first 2 shown]
	v_lshl_add_u32 v92, v48, 1, 0
	v_lshrrev_b16 v165, 13, v102
	ds_load_u16 v106, v89
	ds_load_u16 v103, v90
	;; [unrolled: 1-line block ×6, first 2 shown]
	ds_load_u16 v144, v27 offset:5632
	ds_load_u16 v142, v27 offset:5888
	;; [unrolled: 1-line block ×8, first 2 shown]
	global_wb scope:SCOPE_SE
	s_wait_dscnt 0x0
	s_barrier_signal -1
	s_barrier_wait -1
	global_inv scope:SCOPE_SE
	ds_store_b16 v97, v148
	ds_store_b16 v97, v150 offset:20
	ds_store_b16 v97, v152 offset:40
	v_add_f16_e64 v152, v124, v121
	v_add_f16_e32 v124, v126, v124
	ds_store_b16 v97, v101 offset:60
	ds_store_b16 v97, v146 offset:80
	;; [unrolled: 1-line block ×3, first 2 shown]
	v_fmac_f16_e64 v126, -0.5, v152
	v_sub_f16_e32 v97, v111, v122
	v_add_f16_e32 v121, v124, v121
	v_mul_f16_e32 v119, -0.5, v119
	v_add_f16_e64 v122, v143, v135
	v_mul_f16_e64 v111, 0.5, v151
	v_fmamk_f16 v124, v97, 0x3aee, v126
	v_fmac_f16_e32 v126, 0xbaee, v97
	v_fmac_f16_e32 v119, 0x3aee, v118
	v_add_f16_e32 v97, v121, v122
	v_sub_f16_e32 v118, v121, v122
	v_add_f16_e32 v122, v17, v125
	v_fmac_f16_e64 v111, 0x3aee, v149
	v_add_f16_e32 v17, v99, v17
	v_sub_f16_e32 v16, v16, v123
	v_mul_f16_e32 v15, -0.5, v15
	v_fmac_f16_e32 v99, -0.5, v122
	v_add_f16_e32 v121, v124, v111
	v_sub_f16_e32 v111, v124, v111
	v_add_f16_e32 v124, v126, v119
	v_sub_f16_e32 v119, v126, v119
	ds_store_b16 v164, v97
	ds_store_b16 v164, v121 offset:20
	ds_store_b16 v164, v124 offset:40
	;; [unrolled: 1-line block ×5, first 2 shown]
	v_add_f16_e32 v17, v17, v125
	v_mul_f16_e64 v97, 0.5, v154
	v_fmamk_f16 v111, v16, 0x3aee, v99
	v_add_f16_e64 v118, v147, v133
	v_fmac_f16_e32 v99, 0xbaee, v16
	v_add_f16_e32 v16, v120, v127
	v_fmac_f16_e64 v97, 0x3aee, v153
	v_fmac_f16_e32 v15, 0x3aee, v14
	v_add_f16_e32 v14, v17, v118
	v_sub_f16_e32 v17, v17, v118
	v_add_f16_e32 v118, v98, v120
	v_fmac_f16_e32 v98, -0.5, v16
	v_sub_f16_e32 v12, v12, v13
	v_mul_f16_e32 v11, -0.5, v11
	v_add_f16_e32 v13, v111, v97
	v_sub_f16_e32 v16, v111, v97
	v_add_f16_e32 v97, v99, v15
	v_sub_f16_e32 v15, v99, v15
	v_add_f16_e32 v99, v118, v127
	v_fmamk_f16 v118, v12, 0x3aee, v98
	v_fmac_f16_e32 v98, 0xbaee, v12
	v_add_f16_e32 v12, v9, v115
	v_fmac_f16_e32 v11, 0x3aee, v10
	v_add_f16_e32 v9, v96, v9
	v_mul_f16_e64 v111, 0.5, v157
	v_sub_f16_e32 v8, v8, v113
	v_fmac_f16_e32 v96, -0.5, v12
	v_add_f16_e32 v113, v98, v11
	v_sub_f16_e32 v11, v98, v11
	v_mul_f16_e64 v98, 0.5, v160
	v_mul_f16_e32 v7, -0.5, v7
	v_add_f16_e64 v119, v155, v128
	v_add_f16_e32 v9, v9, v115
	v_add_f16_e64 v110, v158, v110
	v_fmac_f16_e64 v111, 0x3aee, v156
	v_fmamk_f16 v115, v8, 0x3aee, v96
	v_fmac_f16_e64 v98, 0x3aee, v159
	v_fmac_f16_e32 v96, 0xbaee, v8
	v_fmac_f16_e32 v7, 0x3aee, v6
	v_add_f16_e32 v10, v99, v119
	v_add_f16_e32 v6, v9, v110
	v_add_f16_e32 v12, v118, v111
	v_sub_f16_e32 v8, v9, v110
	v_add_f16_e32 v9, v115, v98
	v_add_f16_e32 v110, v96, v7
	v_sub_f16_e32 v99, v99, v119
	v_sub_f16_e32 v111, v118, v111
	v_sub_f16_e32 v98, v115, v98
	v_sub_f16_e32 v7, v96, v7
	v_lshrrev_b16 v96, 13, v93
	ds_store_b16 v161, v14
	ds_store_b16 v161, v13 offset:20
	ds_store_b16 v161, v97 offset:40
	;; [unrolled: 1-line block ×5, first 2 shown]
	ds_store_b16 v163, v10
	ds_store_b16 v163, v12 offset:20
	ds_store_b16 v163, v113 offset:40
	;; [unrolled: 1-line block ×5, first 2 shown]
	v_lshrrev_b32_e32 v97, 21, v95
	ds_store_b16 v162, v6
	ds_store_b16 v162, v9 offset:20
	ds_store_b16 v162, v110 offset:40
	;; [unrolled: 1-line block ×5, first 2 shown]
	v_mul_u32_u24_e32 v9, 0x8889, v47
	v_mul_lo_u16 v166, v165, 60
	v_mul_lo_u16 v13, v96, 60
	;; [unrolled: 1-line block ×3, first 2 shown]
	v_and_b32_e32 v7, 0xffff, v65
	v_lshrrev_b32_e32 v47, 21, v9
	v_mul_u32_u24_e32 v8, 0x8889, v94
	v_sub_nc_u16 v166, v0, v166
	v_sub_nc_u16 v10, v36, v13
	;; [unrolled: 1-line block ×3, first 2 shown]
	v_mul_lo_u16 v12, v47, 60
	v_mul_u32_u24_e32 v7, 0x8889, v7
	v_and_b32_e32 v13, 0xffff, v38
	v_lshrrev_b32_e32 v94, 21, v8
	v_and_b32_e32 v165, 0xffff, v165
	v_and_b32_e32 v166, 0xff, v166
	;; [unrolled: 1-line block ×4, first 2 shown]
	v_lshrrev_b32_e32 v110, 21, v7
	v_mul_u32_u24_e32 v15, 0x8889, v13
	v_mul_lo_u16 v13, v94, 60
	v_sub_nc_u16 v12, v57, v12
	v_mul_u32_u24_e32 v148, 0xf0, v165
	v_lshlrev_b32_e32 v150, 1, v166
	v_and_b32_e32 v98, 0xff, v10
	v_mul_u32_u24_e32 v6, 0x8889, v6
	v_mul_lo_u16 v16, v110, 60
	v_lshrrev_b32_e32 v113, 21, v15
	v_sub_nc_u16 v13, v67, v13
	v_and_b32_e32 v147, 0xffff, v12
	v_add3_u32 v101, 0, v148, v150
	v_lshlrev_b32_e32 v10, 2, v166
	v_lshlrev_b32_e32 v11, 2, v98
	v_lshlrev_b32_e32 v14, 2, v99
	v_lshrrev_b32_e32 v111, 21, v6
	v_sub_nc_u16 v12, v65, v16
	v_mul_lo_u16 v16, v113, 60
	v_and_b32_e32 v148, 0xffff, v13
	v_lshlrev_b32_e32 v13, 2, v147
	global_wb scope:SCOPE_SE
	s_wait_dscnt 0x0
	s_barrier_signal -1
	s_barrier_wait -1
	global_inv scope:SCOPE_SE
	v_mul_lo_u16 v17, v111, 60
	s_clause 0x2
	global_load_b32 v115, v10, s[4:5] offset:200
	global_load_b32 v118, v11, s[4:5] offset:200
	;; [unrolled: 1-line block ×3, first 2 shown]
	v_sub_nc_u16 v10, v38, v16
	global_load_b32 v121, v14, s[4:5] offset:200
	v_sub_nc_u16 v17, v63, v17
	v_and_b32_e32 v16, 0xffff, v40
	v_and_b32_e32 v149, 0xffff, v12
	;; [unrolled: 1-line block ×5, first 2 shown]
	v_lshlrev_b32_e32 v11, 2, v148
	v_mul_u32_u24_e32 v16, 0x8889, v16
	v_lshlrev_b32_e32 v12, 2, v149
	v_mul_u32_u24_e32 v17, 0x8889, v10
	v_and_b32_e32 v10, 0xffff, v41
	v_lshlrev_b32_e32 v119, 2, v150
	v_lshlrev_b32_e32 v120, 2, v151
	s_clause 0x3
	global_load_b32 v124, v11, s[4:5] offset:200
	global_load_b32 v125, v12, s[4:5] offset:200
	;; [unrolled: 1-line block ×4, first 2 shown]
	v_lshrrev_b32_e32 v152, 21, v17
	v_mul_u32_u24_e32 v14, 0x8889, v10
	v_and_b32_e32 v11, 0xffff, v44
	v_lshrrev_b32_e32 v153, 21, v16
	v_and_b32_e32 v122, 0xffff, v42
	v_mul_lo_u16 v10, v152, 60
	v_lshrrev_b32_e32 v154, 21, v14
	v_mul_u32_u24_e32 v12, 0x8889, v11
	v_mul_lo_u16 v11, v153, 60
	v_mul_u32_u24_e32 v13, 0x8889, v122
	v_sub_nc_u16 v10, v39, v10
	v_mul_lo_u16 v119, v154, 60
	v_lshrrev_b32_e32 v157, 21, v12
	v_and_b32_e32 v96, 0xffff, v96
	v_lshrrev_b32_e32 v155, 21, v13
	v_and_b32_e32 v156, 0xffff, v10
	v_sub_nc_u16 v10, v40, v11
	v_and_b32_e32 v11, 0xffff, v46
	v_sub_nc_u16 v119, v41, v119
	v_mul_lo_u16 v120, v155, 60
	v_mul_lo_u16 v128, v157, 60
	v_and_b32_e32 v158, 0xffff, v10
	v_and_b32_e32 v10, 0xffff, v48
	v_mul_u32_u24_e32 v11, 0x8889, v11
	v_lshlrev_b32_e32 v122, 2, v156
	v_sub_nc_u16 v120, v42, v120
	v_and_b32_e32 v161, 0xffff, v119
	v_mul_u32_u24_e32 v10, 0x8889, v10
	v_lshrrev_b32_e32 v159, 21, v11
	v_sub_nc_u16 v128, v44, v128
	global_load_b32 v122, v122, s[4:5] offset:200
	v_lshlrev_b32_e32 v133, 2, v158
	v_lshrrev_b32_e32 v163, 21, v10
	v_and_b32_e32 v162, 0xffff, v120
	v_mul_lo_u16 v119, v159, 60
	v_lshlrev_b32_e32 v120, 2, v161
	global_load_b32 v133, v133, s[4:5] offset:200
	v_and_b32_e32 v164, 0xffff, v128
	v_mul_lo_u16 v128, v163, 60
	v_lshlrev_b32_e32 v135, 2, v162
	v_sub_nc_u16 v119, v46, v119
	global_load_b32 v143, v120, s[4:5] offset:200
	v_mul_u32_u24_e32 v96, 0xf0, v96
	v_sub_nc_u16 v120, v48, v128
	global_load_b32 v128, v135, s[4:5] offset:200
	v_lshlrev_b32_e32 v135, 2, v164
	v_and_b32_e32 v165, 0xffff, v119
	v_lshlrev_b32_e32 v98, 1, v98
	v_and_b32_e32 v166, 0xffff, v120
	v_mul_u32_u24_e32 v97, 0xf0, v97
	global_load_b32 v135, v135, s[4:5] offset:200
	v_lshlrev_b32_e32 v119, 2, v165
	v_mul_u32_u24_e32 v47, 0xf0, v47
	v_lshlrev_b32_e32 v120, 2, v166
	s_clause 0x1
	global_load_b32 v145, v119, s[4:5] offset:200
	global_load_b32 v146, v120, s[4:5] offset:200
	ds_load_u16 v119, v27 offset:3840
	ds_load_u16 v120, v27 offset:4096
	;; [unrolled: 1-line block ×7, first 2 shown]
	ds_load_u16 v173, v27
	v_mul_u32_u24_e32 v94, 0xf0, v94
	v_lshrrev_b16 v93, 14, v93
	v_lshrrev_b32_e32 v95, 22, v95
	s_wait_loadcnt 0xe
	v_lshrrev_b32_e32 v160, 16, v115
	s_wait_loadcnt 0xd
	v_lshrrev_b32_e32 v169, 16, v118
	s_wait_dscnt 0x7
	s_delay_alu instid0(VALU_DEP_2)
	v_mul_f16_e64 v174, v119, v160
	v_mul_f16_e64 v160, v132, v160
	s_wait_dscnt 0x6
	v_mul_f16_e64 v175, v120, v169
	v_mul_f16_e64 v169, v131, v169
	v_fmac_f16_e64 v174, v132, v115
	s_wait_loadcnt 0xb
	v_lshrrev_b32_e32 v132, 16, v121
	v_fma_f16 v176, v119, v115, -v160
	v_lshrrev_b32_e32 v115, 16, v123
	v_fmac_f16_e64 v175, v131, v118
	v_fma_f16 v160, v120, v118, -v169
	s_wait_dscnt 0x5
	v_mul_f16_e64 v177, v167, v132
	v_mul_f16_e64 v118, v130, v132
	s_wait_dscnt 0x4
	v_mul_f16_e64 v169, v168, v115
	v_mul_f16_e64 v115, v129, v115
	s_wait_loadcnt 0xa
	v_lshrrev_b32_e32 v119, 16, v124
	v_fmac_f16_e64 v177, v130, v121
	v_fma_f16 v118, v167, v121, -v118
	v_fmac_f16_e64 v169, v129, v123
	v_fma_f16 v115, v168, v123, -v115
	s_wait_dscnt 0x3
	v_mul_f16_e64 v167, v170, v119
	v_mul_f16_e32 v119, v117, v119
	s_wait_loadcnt 0x9
	v_lshrrev_b32_e32 v120, 16, v125
	ds_load_u16 v121, v27 offset:5632
	ds_load_u16 v129, v27 offset:5888
	s_wait_loadcnt 0x8
	v_lshrrev_b32_e32 v123, 16, v126
	v_fmac_f16_e64 v167, v117, v124
	v_fma_f16 v117, v170, v124, -v119
	s_wait_dscnt 0x4
	v_mul_f16_e64 v168, v171, v120
	v_mul_f16_e32 v119, v114, v120
	s_wait_dscnt 0x3
	v_mul_f16_e64 v170, v172, v123
	v_mul_f16_e32 v120, v112, v123
	ds_load_u16 v123, v27 offset:6144
	v_fmac_f16_e64 v168, v114, v125
	v_fma_f16 v119, v171, v125, -v119
	ds_load_u16 v124, v27 offset:6400
	ds_load_u16 v130, v27 offset:6656
	;; [unrolled: 1-line block ×5, first 2 shown]
	s_wait_loadcnt 0x7
	v_lshrrev_b32_e32 v114, 16, v127
	v_fmac_f16_e64 v170, v112, v126
	v_fma_f16 v120, v172, v126, -v120
	v_sub_f16_e64 v174, v107, v174
	s_wait_dscnt 0x7
	v_mul_f16_e64 v178, v121, v114
	v_mul_f16_e64 v114, v144, v114
	s_wait_loadcnt 0x6
	v_lshrrev_b32_e32 v112, 16, v122
	v_fma_f16 v107, v107, 2.0, -v174
	v_fmac_f16_e64 v178, v144, v127
	v_fma_f16 v121, v121, v127, -v114
	s_wait_dscnt 0x6
	v_mul_f16_e64 v172, v129, v112
	s_wait_loadcnt 0x5
	v_lshrrev_b32_e32 v125, 16, v133
	v_mul_f16_e64 v112, v142, v112
	v_add3_u32 v144, 0, v96, v98
	v_lshlrev_b32_e32 v98, 1, v99
	v_fmac_f16_e64 v172, v142, v122
	s_wait_loadcnt 0x4
	v_lshrrev_b32_e32 v126, 16, v143
	s_wait_dscnt 0x5
	v_mul_f16_e32 v114, v123, v125
	v_fma_f16 v122, v129, v122, -v112
	v_mul_f16_e64 v112, v141, v125
	s_wait_loadcnt 0x3
	v_lshrrev_b32_e32 v127, 16, v128
	v_mul_f16_e64 v125, v140, v126
	s_wait_dscnt 0x4
	v_mul_f16_e64 v179, v124, v126
	v_fmac_f16_e64 v114, v141, v133
	v_fma_f16 v123, v123, v133, -v112
	s_wait_dscnt 0x3
	v_mul_f16_e64 v112, v130, v127
	s_wait_loadcnt 0x2
	v_lshrrev_b32_e32 v126, 16, v135
	v_fma_f16 v125, v124, v143, -v125
	v_mul_f16_e64 v124, v139, v127
	v_fmac_f16_e64 v179, v140, v143
	v_fmac_f16_e64 v112, v139, v128
	s_wait_dscnt 0x2
	v_mul_f16_e64 v180, v131, v126
	v_mul_f16_e64 v129, v138, v126
	v_fma_f16 v126, v130, v128, -v124
	s_wait_loadcnt 0x0
	v_lshrrev_b32_e32 v128, 16, v146
	v_lshrrev_b32_e32 v127, 16, v145
	v_fmac_f16_e64 v180, v138, v135
	v_fma_f16 v124, v131, v135, -v129
	v_lshlrev_b32_e32 v99, 1, v148
	s_wait_dscnt 0x0
	v_mul_f16_e64 v182, v171, v128
	v_mul_f16_e64 v128, v136, v128
	;; [unrolled: 1-line block ×4, first 2 shown]
	s_delay_alu instid0(VALU_DEP_4) | instskip(NEXT) | instid1(VALU_DEP_4)
	v_fmac_f16_e64 v182, v136, v146
	v_fma_f16 v128, v171, v146, -v128
	v_sub_f16_e64 v171, v134, v175
	v_fmac_f16_e64 v181, v137, v145
	v_fma_f16 v127, v132, v145, -v127
	ds_load_u16 v139, v29
	ds_load_u16 v138, v18
	;; [unrolled: 1-line block ×14, first 2 shown]
	v_fma_f16 v96, v134, 2.0, -v171
	global_wb scope:SCOPE_SE
	s_wait_dscnt 0x0
	s_barrier_signal -1
	s_barrier_wait -1
	global_inv scope:SCOPE_SE
	ds_store_b16 v101, v107
	ds_store_b16 v101, v174 offset:120
	ds_store_b16 v144, v96
	ds_store_b16 v144, v171 offset:120
	v_sub_f16_e64 v96, v116, v177
	v_add3_u32 v134, 0, v97, v98
	v_lshlrev_b32_e32 v97, 1, v147
	v_sub_f16_e64 v98, v109, v169
	v_sub_f16_e64 v107, v108, v167
	v_fma_f16 v148, v116, 2.0, -v96
	v_add3_u32 v116, 0, v94, v99
	v_add3_u32 v147, 0, v47, v97
	v_fma_f16 v47, v109, 2.0, -v98
	ds_store_b16 v134, v148
	ds_store_b16 v134, v96 offset:120
	ds_store_b16 v147, v47
	ds_store_b16 v147, v98 offset:120
	v_mul_u32_u24_e32 v47, 0xf0, v110
	v_lshlrev_b32_e32 v96, 1, v149
	v_sub_f16_e64 v97, v2, v168
	v_fma_f16 v94, v108, 2.0, -v107
	v_mul_u32_u24_e32 v98, 0xf0, v111
	v_lshlrev_b32_e32 v99, 1, v150
	v_sub_f16_e64 v108, v100, v170
	v_add3_u32 v149, 0, v47, v96
	v_fma_f16 v2, v2, 2.0, -v97
	ds_store_b16 v116, v94
	ds_store_b16 v116, v107 offset:120
	v_add3_u32 v148, 0, v98, v99
	v_fma_f16 v47, v100, 2.0, -v108
	v_mul_u32_u24_e32 v94, 0xf0, v113
	v_lshlrev_b32_e32 v96, 1, v151
	ds_store_b16 v149, v2
	ds_store_b16 v149, v97 offset:120
	ds_store_b16 v148, v47
	ds_store_b16 v148, v108 offset:120
	v_sub_f16_e64 v2, v5, v178
	v_mul_u32_u24_e32 v47, 0xf0, v152
	v_mul_u32_u24_e32 v97, 0xf0, v153
	v_add3_u32 v150, 0, v94, v96
	v_lshlrev_b32_e32 v94, 1, v156
	v_sub_f16_e64 v96, v4, v172
	v_fma_f16 v5, v5, 2.0, -v2
	v_lshlrev_b32_e32 v98, 1, v158
	v_sub_f16_e32 v99, v3, v114
	v_add3_u32 v151, 0, v47, v94
	v_fma_f16 v4, v4, 2.0, -v96
	ds_store_b16 v150, v5
	ds_store_b16 v150, v2 offset:120
	ds_store_b16 v151, v4
	ds_store_b16 v151, v96 offset:120
	v_mul_u32_u24_e32 v2, 0xf0, v154
	v_lshlrev_b32_e32 v4, 1, v161
	v_sub_f16_e64 v5, v105, v179
	v_add3_u32 v152, 0, v97, v98
	v_fma_f16 v3, v3, 2.0, -v99
	v_mul_u32_u24_e32 v47, 0xf0, v155
	v_lshlrev_b32_e32 v94, 1, v162
	v_sub_f16_e32 v96, v106, v112
	v_add3_u32 v153, 0, v2, v4
	v_fma_f16 v2, v105, 2.0, -v5
	ds_store_b16 v152, v3
	ds_store_b16 v152, v99 offset:120
	v_add3_u32 v3, 0, v47, v94
	v_fma_f16 v4, v106, 2.0, -v96
	v_mul_u32_u24_e32 v47, 0xf0, v157
	v_lshlrev_b32_e32 v94, 1, v164
	v_sub_f16_e64 v145, v173, v176
	ds_store_b16 v153, v2
	ds_store_b16 v153, v5 offset:120
	ds_store_b16 v3, v4
	ds_store_b16 v3, v96 offset:120
	v_sub_f16_e64 v2, v103, v180
	v_mul_u32_u24_e32 v4, 0xf0, v159
	v_add3_u32 v154, 0, v47, v94
	v_lshlrev_b32_e32 v5, 1, v165
	v_sub_f16_e64 v47, v102, v181
	v_mul_u32_u24_e32 v94, 0xf0, v163
	v_lshlrev_b32_e32 v96, 1, v166
	v_sub_f16_e64 v97, v104, v182
	v_fma_f16 v146, v173, 2.0, -v145
	v_fma_f16 v98, v103, 2.0, -v2
	v_sub_f16_e64 v160, v143, v160
	v_sub_f16_e64 v118, v142, v118
	v_add3_u32 v156, 0, v4, v5
	v_fma_f16 v4, v102, 2.0, -v47
	v_add3_u32 v155, 0, v94, v96
	v_fma_f16 v5, v104, 2.0, -v97
	ds_store_b16 v154, v98
	ds_store_b16 v154, v2 offset:120
	ds_store_b16 v156, v4
	ds_store_b16 v156, v47 offset:120
	;; [unrolled: 2-line block ×3, first 2 shown]
	global_wb scope:SCOPE_SE
	s_wait_dscnt 0x0
	s_barrier_signal -1
	s_barrier_wait -1
	global_inv scope:SCOPE_SE
	ds_load_u16 v100, v29
	ds_load_u16 v107, v27
	ds_load_u16 v114, v27 offset:3840
	ds_load_u16 v113, v27 offset:4096
	;; [unrolled: 1-line block ×7, first 2 shown]
	ds_load_u16 v102, v18
	ds_load_u16 v97, v19
	;; [unrolled: 1-line block ×13, first 2 shown]
	ds_load_u16 v165, v27 offset:5632
	ds_load_u16 v164, v27 offset:5888
	ds_load_u16 v163, v27 offset:6144
	ds_load_u16 v162, v27 offset:6400
	ds_load_u16 v161, v27 offset:6656
	ds_load_u16 v159, v27 offset:6912
	ds_load_u16 v158, v27 offset:7168
	ds_load_u16 v157, v27 offset:7424
	global_wb scope:SCOPE_SE
	s_wait_dscnt 0x0
	s_barrier_signal -1
	s_barrier_wait -1
	global_inv scope:SCOPE_SE
	ds_store_b16 v101, v146
	ds_store_b16 v101, v145 offset:120
	v_fma_f16 v146, v143, 2.0, -v160
	v_sub_f16_e64 v101, v141, v115
	v_fma_f16 v115, v142, 2.0, -v118
	v_sub_f16_e64 v117, v140, v117
	ds_store_b16 v144, v146
	ds_store_b16 v144, v160 offset:120
	v_fma_f16 v141, v141, 2.0, -v101
	ds_store_b16 v134, v115
	ds_store_b16 v134, v118 offset:120
	v_sub_f16_e64 v115, v139, v119
	v_fma_f16 v118, v140, 2.0, -v117
	v_sub_f16_e64 v119, v138, v120
	ds_store_b16 v147, v141
	ds_store_b16 v147, v101 offset:120
	ds_store_b16 v116, v118
	ds_store_b16 v116, v117 offset:120
	v_fma_f16 v101, v139, 2.0, -v115
	v_sub_f16_e64 v116, v137, v121
	v_fma_f16 v117, v138, 2.0, -v119
	ds_store_b16 v149, v101
	ds_store_b16 v149, v115 offset:120
	v_sub_f16_e64 v101, v135, v122
	v_fma_f16 v115, v137, 2.0, -v116
	ds_store_b16 v148, v117
	ds_store_b16 v148, v119 offset:120
	v_sub_f16_e64 v117, v132, v123
	v_sub_f16_e64 v118, v136, v125
	v_fma_f16 v119, v135, 2.0, -v101
	v_sub_f16_e64 v120, v131, v126
	ds_store_b16 v150, v115
	ds_store_b16 v150, v116 offset:120
	v_fma_f16 v115, v132, 2.0, -v117
	v_fma_f16 v116, v136, 2.0, -v118
	v_add_nc_u32_e32 v2, 0xffffff88, v0
	ds_store_b16 v151, v119
	ds_store_b16 v151, v101 offset:120
	ds_store_b16 v152, v115
	ds_store_b16 v152, v117 offset:120
	v_fma_f16 v101, v131, 2.0, -v120
	v_sub_f16_e64 v115, v130, v124
	ds_store_b16 v153, v116
	ds_store_b16 v153, v118 offset:120
	v_sub_f16_e64 v116, v129, v127
	v_sub_f16_e64 v117, v133, v128
	s_wait_alu 0xf1ff
	v_cndmask_b32_e64 v2, v2, v0, s0
	v_fma_f16 v118, v130, 2.0, -v115
	ds_store_b16 v3, v101
	ds_store_b16 v3, v120 offset:120
	v_mov_b32_e32 v3, 0
	v_fma_f16 v101, v129, 2.0, -v116
	v_fma_f16 v119, v133, 2.0, -v117
	ds_store_b16 v154, v118
	ds_store_b16 v154, v115 offset:120
	ds_store_b16 v156, v101
	ds_store_b16 v156, v116 offset:120
	v_lshlrev_b64_e32 v[115:116], 2, v[2:3]
	v_cmp_lt_u32_e64 s0, 0x77, v0
	ds_store_b16 v155, v119
	ds_store_b16 v155, v117 offset:120
	v_lshrrev_b32_e32 v117, 22, v9
	v_lshrrev_b32_e32 v118, 22, v8
	;; [unrolled: 1-line block ×6, first 2 shown]
	s_wait_alu 0xf1ff
	v_cndmask_b32_e64 v166, 0, 0x1e0, s0
	v_add_co_u32 v115, s0, s4, v115
	v_lshlrev_b32_e32 v167, 1, v2
	v_mul_lo_u16 v2, 0x78, v93
	v_mul_lo_u16 v101, 0x78, v95
	s_wait_alu 0xf1ff
	v_add_co_ci_u32_e64 v116, s0, s5, v116, s0
	v_mul_lo_u16 v119, 0x78, v117
	v_mul_lo_u16 v121, 0x78, v118
	;; [unrolled: 1-line block ×6, first 2 shown]
	global_wb scope:SCOPE_SE
	s_wait_dscnt 0x0
	s_barrier_signal -1
	v_sub_nc_u16 v2, v36, v2
	s_barrier_wait -1
	v_sub_nc_u16 v101, v33, v101
	global_inv scope:SCOPE_SE
	global_load_b32 v115, v[115:116], off offset:440
	v_sub_nc_u16 v116, v57, v119
	v_sub_nc_u16 v121, v67, v121
	;; [unrolled: 1-line block ×6, first 2 shown]
	v_and_b32_e32 v2, 0xff, v2
	v_and_b32_e32 v101, 0xffff, v101
	;; [unrolled: 1-line block ×8, first 2 shown]
	v_lshlrev_b32_e32 v120, 2, v2
	v_lshlrev_b32_e32 v123, 2, v101
	;; [unrolled: 1-line block ×8, first 2 shown]
	s_clause 0x7
	global_load_b32 v119, v120, s[4:5] offset:440
	global_load_b32 v123, v123, s[4:5] offset:440
	;; [unrolled: 1-line block ×8, first 2 shown]
	v_lshrrev_b32_e32 v120, 22, v7
	v_lshrrev_b32_e32 v126, 22, v15
	v_lshrrev_b32_e32 v134, 22, v16
	v_lshrrev_b32_e32 v138, 22, v13
	v_lshrrev_b32_e32 v146, 22, v11
	v_mul_lo_u16 v124, 0x78, v120
	v_mul_lo_u16 v128, 0x78, v126
	;; [unrolled: 1-line block ×4, first 2 shown]
	v_lshrrev_b32_e32 v147, 22, v10
	v_sub_nc_u16 v124, v65, v124
	v_sub_nc_u16 v128, v38, v128
	;; [unrolled: 1-line block ×4, first 2 shown]
	v_mul_lo_u16 v148, 0x78, v146
	v_and_b32_e32 v124, 0xffff, v124
	v_and_b32_e32 v128, 0xffff, v128
	v_and_b32_e32 v136, 0xffff, v136
	v_and_b32_e32 v141, 0xffff, v141
	v_mul_lo_u16 v150, 0x78, v147
	v_lshlrev_b32_e32 v132, 2, v124
	v_lshlrev_b32_e32 v135, 2, v128
	v_lshlrev_b32_e32 v145, 2, v136
	v_lshlrev_b32_e32 v151, 2, v141
	v_sub_nc_u16 v148, v46, v148
	s_clause 0x3
	global_load_b32 v132, v132, s[4:5] offset:440
	global_load_b32 v135, v135, s[4:5] offset:440
	;; [unrolled: 1-line block ×4, first 2 shown]
	v_sub_nc_u16 v150, v48, v150
	v_and_b32_e32 v148, 0xffff, v148
	v_add3_u32 v143, 0, v166, v167
	v_and_b32_e32 v93, 0xffff, v93
	v_lshlrev_b32_e32 v2, 1, v2
	v_and_b32_e32 v150, 0xffff, v150
	v_lshlrev_b32_e32 v153, 2, v148
	v_mul_u32_u24_e32 v95, 0x1e0, v95
	v_mul_u32_u24_e32 v93, 0x1e0, v93
	v_lshlrev_b32_e32 v101, 1, v101
	v_lshlrev_b32_e32 v154, 2, v150
	s_clause 0x1
	global_load_b32 v153, v153, s[4:5] offset:440
	global_load_b32 v154, v154, s[4:5] offset:440
	ds_load_u16 v155, v27 offset:3840
	ds_load_u16 v156, v27 offset:4096
	;; [unrolled: 1-line block ×7, first 2 shown]
	ds_load_u16 v172, v27
	v_add3_u32 v2, 0, v93, v2
	v_lshrrev_b32_e32 v9, 23, v9
	v_lshrrev_b32_e32 v7, 23, v7
	;; [unrolled: 1-line block ×4, first 2 shown]
	s_delay_alu instid0(VALU_DEP_2) | instskip(NEXT) | instid1(VALU_DEP_1)
	v_mul_lo_u16 v8, 0xf0, v8
	v_sub_nc_u16 v67, v67, v8
	s_wait_loadcnt 0xe
	v_lshrrev_b32_e32 v166, 16, v115
	s_wait_dscnt 0x7
	s_delay_alu instid0(VALU_DEP_1) | instskip(SKIP_1) | instid1(VALU_DEP_2)
	v_mul_f16_e64 v173, v155, v166
	v_mul_f16_e64 v166, v114, v166
	v_fmac_f16_e64 v173, v114, v115
	s_delay_alu instid0(VALU_DEP_2)
	v_fma_f16 v115, v155, v115, -v166
	s_wait_loadcnt 0xd
	v_lshrrev_b32_e32 v168, 16, v119
	s_wait_loadcnt 0xc
	v_lshrrev_b32_e32 v114, 16, v123
	s_wait_loadcnt 0xb
	v_lshrrev_b32_e32 v155, 16, v127
	s_wait_loadcnt 0xa
	v_lshrrev_b32_e32 v166, 16, v129
	s_wait_dscnt 0x6
	v_mul_f16_e64 v174, v156, v168
	v_mul_f16_e64 v168, v113, v168
	s_delay_alu instid0(VALU_DEP_2) | instskip(NEXT) | instid1(VALU_DEP_2)
	v_fmac_f16_e64 v174, v113, v119
	v_fma_f16 v156, v156, v119, -v168
	s_wait_dscnt 0x4
	v_mul_f16_e64 v119, v167, v155
	v_mul_f16_e64 v113, v160, v114
	;; [unrolled: 1-line block ×3, first 2 shown]
	v_mul_f16_e32 v114, v112, v114
	s_delay_alu instid0(VALU_DEP_4)
	v_fmac_f16_e32 v119, v111, v127
	s_wait_dscnt 0x3
	v_mul_f16_e64 v111, v169, v166
	v_fmac_f16_e32 v113, v112, v123
	v_fma_f16 v127, v167, v127, -v155
	v_mul_f16_e64 v112, v110, v166
	ds_load_u16 v155, v27 offset:5632
	v_fmac_f16_e64 v111, v110, v129
	ds_load_u16 v110, v27 offset:5888
	ds_load_u16 v167, v27 offset:6144
	v_fma_f16 v123, v160, v123, -v114
	s_wait_loadcnt 0x9
	v_lshrrev_b32_e32 v160, 16, v133
	v_fma_f16 v129, v169, v129, -v112
	v_sub_f16_e32 v111, v103, v111
	s_wait_dscnt 0x4
	s_delay_alu instid0(VALU_DEP_3) | instskip(SKIP_3) | instid1(VALU_DEP_3)
	v_mul_f16_e64 v166, v171, v160
	s_wait_loadcnt 0x5
	v_lshrrev_b32_e32 v114, 16, v132
	v_mul_f16_e64 v160, v108, v160
	v_fmac_f16_e64 v166, v108, v133
	s_delay_alu instid0(VALU_DEP_3)
	v_mul_f16_e64 v112, v170, v114
	v_mul_f16_e32 v114, v109, v114
	v_lshrrev_b32_e32 v108, 16, v140
	v_fma_f16 v133, v171, v133, -v160
	s_wait_loadcnt 0x3
	v_lshrrev_b32_e32 v171, 16, v145
	v_fmac_f16_e64 v112, v109, v132
	v_fma_f16 v132, v170, v132, -v114
	ds_load_u16 v114, v27 offset:6400
	ds_load_u16 v168, v27 offset:6656
	ds_load_u16 v169, v27 offset:6912
	ds_load_u16 v170, v27 offset:7168
	ds_load_u16 v175, v27 offset:7424
	v_lshrrev_b32_e32 v109, 16, v135
	s_wait_dscnt 0x6
	v_mul_f16_e64 v160, v110, v108
	v_mul_f16_e64 v108, v164, v108
	s_delay_alu instid0(VALU_DEP_3) | instskip(SKIP_1) | instid1(VALU_DEP_4)
	v_mul_f16_e64 v176, v155, v109
	v_mul_f16_e64 v109, v165, v109
	v_fmac_f16_e64 v160, v164, v140
	s_delay_alu instid0(VALU_DEP_4)
	v_fma_f16 v140, v110, v140, -v108
	v_mul_f16_e64 v108, v163, v171
	v_fmac_f16_e64 v176, v165, v135
	v_fma_f16 v135, v155, v135, -v109
	s_wait_dscnt 0x5
	v_mul_f16_e64 v109, v167, v171
	v_lshrrev_b32_e32 v155, 16, v149
	s_wait_loadcnt 0x2
	v_lshrrev_b32_e32 v110, 16, v151
	v_lshrrev_b32_e32 v164, 16, v152
	v_fmac_f16_e64 v109, v163, v145
	s_wait_dscnt 0x4
	v_mul_f16_e64 v163, v114, v155
	v_mul_f16_e64 v155, v162, v155
	v_fma_f16 v145, v167, v145, -v108
	s_wait_dscnt 0x3
	v_mul_f16_e64 v108, v168, v110
	v_mul_f16_e64 v110, v161, v110
	v_fmac_f16_e64 v163, v162, v149
	v_fma_f16 v149, v114, v149, -v155
	s_wait_dscnt 0x2
	v_mul_f16_e64 v114, v169, v164
	v_fmac_f16_e64 v108, v161, v151
	v_mul_f16_e64 v161, v159, v164
	v_fma_f16 v151, v168, v151, -v110
	s_wait_loadcnt 0x0
	v_lshrrev_b32_e32 v110, 16, v154
	v_fmac_f16_e64 v114, v159, v152
	v_lshrrev_b32_e32 v155, 16, v153
	v_fma_f16 v152, v169, v152, -v161
	v_sub_f16_e64 v162, v107, v173
	s_wait_dscnt 0x0
	v_mul_f16_e64 v161, v175, v110
	v_mul_f16_e64 v110, v157, v110
	;; [unrolled: 1-line block ×4, first 2 shown]
	v_fma_f16 v107, v107, 2.0, -v162
	v_fmac_f16_e64 v161, v157, v154
	v_fma_f16 v154, v175, v154, -v110
	v_sub_f16_e64 v110, v106, v174
	v_fmac_f16_e64 v159, v158, v153
	v_fma_f16 v153, v170, v153, -v155
	ds_load_u16 v155, v29
	ds_load_u16 v157, v18
	;; [unrolled: 1-line block ×14, first 2 shown]
	v_fma_f16 v93, v106, 2.0, -v110
	global_wb scope:SCOPE_SE
	s_wait_dscnt 0x0
	s_barrier_signal -1
	s_barrier_wait -1
	global_inv scope:SCOPE_SE
	ds_store_b16 v143, v107
	ds_store_b16 v143, v162 offset:240
	ds_store_b16 v2, v93
	ds_store_b16 v2, v110 offset:240
	v_sub_f16_e32 v93, v105, v113
	v_add3_u32 v162, 0, v95, v101
	v_mul_u32_u24_e32 v95, 0x1e0, v117
	v_lshlrev_b32_e32 v101, 1, v116
	v_sub_f16_e32 v106, v104, v119
	v_fma_f16 v105, v105, 2.0, -v93
	v_mul_u32_u24_e32 v107, 0x1e0, v118
	v_lshlrev_b32_e32 v110, 1, v121
	v_add3_u32 v179, 0, v95, v101
	v_fma_f16 v95, v104, 2.0, -v106
	v_fma_f16 v101, v103, 2.0, -v111
	ds_store_b16 v162, v105
	ds_store_b16 v162, v93 offset:240
	ds_store_b16 v179, v95
	ds_store_b16 v179, v106 offset:240
	v_mul_u32_u24_e32 v93, 0x1e0, v120
	v_lshlrev_b32_e32 v95, 1, v124
	v_sub_f16_e32 v103, v100, v112
	v_add3_u32 v180, 0, v107, v110
	v_mul_u32_u24_e32 v104, 0x1e0, v122
	v_lshlrev_b32_e32 v105, 1, v125
	v_sub_f16_e64 v106, v102, v166
	v_add3_u32 v122, 0, v93, v95
	v_fma_f16 v93, v100, 2.0, -v103
	ds_store_b16 v180, v101
	ds_store_b16 v180, v111 offset:240
	v_add3_u32 v124, 0, v104, v105
	v_fma_f16 v95, v102, 2.0, -v106
	v_mul_u32_u24_e32 v100, 0x1e0, v126
	v_lshlrev_b32_e32 v101, 1, v128
	ds_store_b16 v122, v93
	ds_store_b16 v122, v103 offset:240
	ds_store_b16 v124, v95
	ds_store_b16 v124, v106 offset:240
	v_sub_f16_e64 v93, v97, v176
	v_mul_u32_u24_e32 v95, 0x1e0, v130
	v_sub_f16_e32 v104, v99, v109
	v_add3_u32 v125, 0, v100, v101
	v_lshlrev_b32_e32 v100, 1, v131
	v_sub_f16_e64 v101, v98, v160
	v_fma_f16 v97, v97, 2.0, -v93
	v_mul_u32_u24_e32 v102, 0x1e0, v134
	v_lshlrev_b32_e32 v103, 1, v136
	v_add3_u32 v126, 0, v95, v100
	v_fma_f16 v95, v98, 2.0, -v101
	ds_store_b16 v125, v97
	ds_store_b16 v125, v93 offset:240
	ds_store_b16 v126, v95
	ds_store_b16 v126, v101 offset:240
	v_mul_u32_u24_e32 v93, 0x1e0, v137
	v_lshlrev_b32_e32 v95, 1, v139
	v_sub_f16_e64 v97, v94, v163
	v_fma_f16 v98, v99, 2.0, -v104
	v_mul_u32_u24_e32 v99, 0x1e0, v138
	v_lshlrev_b32_e32 v100, 1, v141
	v_sub_f16_e32 v101, v96, v108
	v_add3_u32 v128, 0, v102, v103
	v_add3_u32 v130, 0, v93, v95
	v_fma_f16 v93, v94, 2.0, -v97
	v_add3_u32 v131, 0, v99, v100
	v_fma_f16 v94, v96, 2.0, -v101
	v_mul_u32_u24_e32 v95, 0x1e0, v142
	v_lshlrev_b32_e32 v96, 1, v144
	ds_store_b16 v128, v98
	ds_store_b16 v128, v104 offset:240
	ds_store_b16 v130, v93
	ds_store_b16 v130, v97 offset:240
	;; [unrolled: 2-line block ×3, first 2 shown]
	v_sub_f16_e32 v93, v4, v114
	v_mul_u32_u24_e32 v94, 0x1e0, v146
	v_add3_u32 v134, 0, v95, v96
	v_lshlrev_b32_e32 v95, 1, v148
	v_sub_f16_e64 v96, v5, v159
	v_mul_u32_u24_e32 v97, 0x1e0, v147
	v_lshlrev_b32_e32 v98, 1, v150
	v_sub_f16_e64 v99, v47, v161
	v_fma_f16 v4, v4, 2.0, -v93
	v_add3_u32 v136, 0, v94, v95
	v_fma_f16 v5, v5, 2.0, -v96
	v_add3_u32 v137, 0, v97, v98
	v_fma_f16 v47, v47, 2.0, -v99
	v_sub_f16_e64 v174, v172, v115
	ds_store_b16 v134, v4
	ds_store_b16 v134, v93 offset:240
	ds_store_b16 v136, v5
	ds_store_b16 v136, v96 offset:240
	;; [unrolled: 2-line block ×3, first 2 shown]
	v_sub_f16_e64 v4, v177, v156
	v_sub_f16_e64 v5, v175, v123
	v_sub_f16_e64 v127, v168, v127
	v_fma_f16 v172, v172, 2.0, -v174
	global_wb scope:SCOPE_SE
	s_wait_dscnt 0x0
	v_fma_f16 v123, v177, 2.0, -v4
	v_fma_f16 v138, v175, 2.0, -v5
	s_barrier_signal -1
	s_barrier_wait -1
	global_inv scope:SCOPE_SE
	ds_load_u16 v100, v29
	ds_load_u16 v106, v27
	ds_load_u16 v121, v27 offset:3840
	ds_load_u16 v120, v27 offset:4096
	;; [unrolled: 1-line block ×7, first 2 shown]
	ds_load_u16 v102, v18
	ds_load_u16 v101, v19
	;; [unrolled: 1-line block ×13, first 2 shown]
	ds_load_u16 v117, v27 offset:5632
	ds_load_u16 v115, v27 offset:5888
	;; [unrolled: 1-line block ×8, first 2 shown]
	global_wb scope:SCOPE_SE
	s_wait_dscnt 0x0
	s_barrier_signal -1
	s_barrier_wait -1
	global_inv scope:SCOPE_SE
	ds_store_b16 v143, v172
	ds_store_b16 v143, v174 offset:240
	ds_store_b16 v2, v123
	ds_store_b16 v2, v4 offset:240
	v_sub_f16_e64 v2, v167, v129
	v_fma_f16 v4, v168, 2.0, -v127
	ds_store_b16 v162, v138
	ds_store_b16 v162, v5 offset:240
	v_sub_f16_e64 v5, v155, v132
	v_sub_f16_e64 v129, v157, v133
	v_fma_f16 v123, v167, 2.0, -v2
	ds_store_b16 v179, v4
	ds_store_b16 v179, v127 offset:240
	ds_store_b16 v180, v123
	ds_store_b16 v180, v2 offset:240
	v_fma_f16 v4, v155, 2.0, -v5
	v_sub_f16_e64 v2, v158, v135
	v_fma_f16 v123, v157, 2.0, -v129
	ds_store_b16 v122, v4
	ds_store_b16 v122, v5 offset:240
	v_sub_f16_e64 v4, v164, v140
	v_fma_f16 v5, v158, 2.0, -v2
	ds_store_b16 v124, v123
	ds_store_b16 v124, v129 offset:240
	v_sub_f16_e64 v122, v165, v145
	v_sub_f16_e64 v123, v169, v149
	v_fma_f16 v124, v164, 2.0, -v4
	ds_store_b16 v125, v5
	ds_store_b16 v125, v2 offset:240
	ds_store_b16 v126, v124
	ds_store_b16 v126, v4 offset:240
	v_sub_f16_e64 v4, v170, v151
	v_fma_f16 v127, v165, 2.0, -v122
	v_fma_f16 v2, v169, 2.0, -v123
	v_sub_f16_e64 v5, v171, v152
	ds_store_b16 v128, v127
	ds_store_b16 v128, v122 offset:240
	v_fma_f16 v125, v170, 2.0, -v4
	ds_store_b16 v130, v2
	ds_store_b16 v130, v123 offset:240
	v_fma_f16 v2, v171, 2.0, -v5
	ds_store_b16 v131, v125
	ds_store_b16 v131, v4 offset:240
	ds_store_b16 v134, v2
	ds_store_b16 v134, v5 offset:240
	v_lshlrev_b64_e32 v[4:5], 2, v[0:1]
	v_sub_f16_e64 v122, v173, v153
	v_add_nc_u32_e32 v2, 0xffffff90, v0
	v_sub_f16_e64 v124, v178, v154
	v_lshrrev_b32_e32 v128, 23, v17
	v_lshrrev_b32_e32 v133, 23, v14
	v_add_co_u32 v4, s0, s4, v4
	s_wait_alu 0xf1ff
	v_add_co_ci_u32_e64 v5, s0, s5, v5, s0
	v_cmp_gt_u32_e64 s0, 0xf0, v36
	v_fma_f16 v123, v173, 2.0, -v122
	v_fma_f16 v126, v178, 2.0, -v124
	ds_store_b16 v136, v123
	ds_store_b16 v136, v122 offset:240
	ds_store_b16 v137, v126
	ds_store_b16 v137, v124 offset:240
	s_wait_alu 0xf1ff
	v_cndmask_b32_e64 v2, v2, v36, s0
	v_mul_lo_u16 v124, 0xf0, v9
	global_wb scope:SCOPE_SE
	s_wait_dscnt 0x0
	s_barrier_signal -1
	s_barrier_wait -1
	v_lshlrev_b64_e32 v[122:123], 2, v[2:3]
	global_inv scope:SCOPE_SE
	s_clause 0x1
	global_load_b32 v125, v[4:5], off offset:920
	global_load_b32 v126, v[4:5], off offset:984
	v_sub_nc_u16 v124, v57, v124
	v_mul_lo_u16 v128, 0xf0, v128
	v_add_co_u32 v122, s0, s4, v122
	s_wait_alu 0xf1ff
	v_add_co_ci_u32_e64 v123, s0, s5, v123, s0
	v_and_b32_e32 v8, 0xffff, v124
	v_mul_lo_u16 v124, 0xf0, v6
	v_and_b32_e32 v6, 0xffff, v67
	global_load_b32 v122, v[122:123], off offset:920
	v_mul_lo_u16 v123, 0xf0, v7
	v_lshlrev_b32_e32 v67, 2, v8
	v_sub_nc_u16 v63, v63, v124
	v_lshlrev_b32_e32 v124, 2, v6
	v_sub_nc_u16 v128, v39, v128
	v_sub_nc_u16 v123, v65, v123
	v_lshrrev_b32_e32 v65, 23, v15
	s_clause 0x1
	global_load_b32 v127, v67, s[4:5] offset:920
	global_load_b32 v124, v124, s[4:5] offset:920
	v_and_b32_e32 v63, 0xffff, v63
	v_and_b32_e32 v123, 0xffff, v123
	v_mul_lo_u16 v129, 0xf0, v65
	v_mul_lo_u16 v133, 0xf0, v133
	v_lshrrev_b32_e32 v134, 23, v13
	v_lshlrev_b32_e32 v131, 2, v63
	v_lshlrev_b32_e32 v130, 2, v123
	v_sub_nc_u16 v129, v38, v129
	v_and_b32_e32 v128, 0xffff, v128
	v_sub_nc_u16 v133, v41, v133
	s_clause 0x1
	global_load_b32 v131, v131, s[4:5] offset:920
	global_load_b32 v130, v130, s[4:5] offset:920
	v_and_b32_e32 v129, 0xffff, v129
	v_mul_lo_u16 v137, 0xf0, v134
	v_lshrrev_b32_e32 v139, 23, v12
	v_lshrrev_b32_e32 v140, 23, v11
	v_lshlrev_b32_e32 v136, 2, v128
	v_lshlrev_b32_e32 v135, 2, v129
	v_and_b32_e32 v133, 0xffff, v133
	v_sub_nc_u16 v137, v42, v137
	v_mul_lo_u16 v139, 0xf0, v139
	v_lshrrev_b32_e32 v142, 23, v10
	global_load_b32 v135, v135, s[4:5] offset:920
	v_lshrrev_b32_e32 v67, 23, v16
	v_mul_lo_u16 v141, 0xf0, v140
	v_lshlrev_b32_e32 v143, 2, v133
	v_and_b32_e32 v137, 0xffff, v137
	v_sub_nc_u16 v139, v44, v139
	v_mul_lo_u16 v132, 0xf0, v67
	v_mul_lo_u16 v142, 0xf0, v142
	v_sub_nc_u16 v141, v46, v141
	v_lshlrev_b32_e32 v144, 2, v137
	v_and_b32_e32 v139, 0xffff, v139
	v_sub_nc_u16 v132, v40, v132
	v_sub_nc_u16 v142, v48, v142
	v_and_b32_e32 v141, 0xffff, v141
	v_cmp_lt_u32_e64 s0, 0xef, v36
	v_lshlrev_b32_e32 v145, 2, v139
	v_and_b32_e32 v132, 0xffff, v132
	v_and_b32_e32 v142, 0xffff, v142
	v_lshlrev_b32_e32 v146, 2, v141
	v_lshlrev_b32_e32 v2, 1, v2
	v_mul_u32_u24_e32 v9, 0x3c0, v9
	v_lshlrev_b32_e32 v138, 2, v132
	s_clause 0x5
	global_load_b32 v136, v136, s[4:5] offset:920
	global_load_b32 v138, v138, s[4:5] offset:920
	;; [unrolled: 1-line block ×6, first 2 shown]
	v_lshlrev_b32_e32 v147, 2, v142
	v_lshlrev_b32_e32 v8, 1, v8
	v_lshl_add_u32 v6, v6, 1, 0
	v_mul_u32_u24_e32 v7, 0x3c0, v7
	v_mul_u32_u24_e32 v65, 0x3c0, v65
	global_load_b32 v147, v147, s[4:5] offset:920
	ds_load_u16 v148, v27 offset:3840
	ds_load_u16 v149, v27 offset:4096
	ds_load_u16 v150, v27 offset:4352
	ds_load_u16 v152, v27 offset:4608
	ds_load_u16 v153, v27 offset:4864
	ds_load_u16 v154, v27 offset:5120
	ds_load_u16 v155, v27 offset:5376
	ds_load_u16 v156, v27
	v_add3_u32 v8, 0, v9, v8
	v_lshrrev_b32_e32 v15, 24, v15
	v_lshrrev_b32_e32 v17, 24, v17
	;; [unrolled: 1-line block ×6, first 2 shown]
	v_mul_lo_u16 v17, 0x1e0, v17
	v_mul_lo_u16 v16, 0x1e0, v16
	;; [unrolled: 1-line block ×3, first 2 shown]
	v_lshrrev_b32_e32 v11, 24, v11
	v_mul_lo_u16 v12, 0x1e0, v12
	v_sub_nc_u16 v17, v39, v17
	v_sub_nc_u16 v16, v40, v16
	;; [unrolled: 1-line block ×3, first 2 shown]
	v_lshrrev_b32_e32 v10, 24, v10
	v_sub_nc_u16 v12, v44, v12
	v_and_b32_e32 v17, 0xffff, v17
	v_and_b32_e32 v16, 0xffff, v16
	v_and_b32_e32 v14, 0xffff, v14
	v_mul_lo_u16 v11, 0x1e0, v11
	v_mul_lo_u16 v10, 0x1e0, v10
	v_and_b32_e32 v12, 0xffff, v12
	s_delay_alu instid0(VALU_DEP_3) | instskip(NEXT) | instid1(VALU_DEP_3)
	v_sub_nc_u16 v11, v46, v11
	v_sub_nc_u16 v10, v48, v10
	s_delay_alu instid0(VALU_DEP_2) | instskip(NEXT) | instid1(VALU_DEP_2)
	v_and_b32_e32 v11, 0xffff, v11
	v_and_b32_e32 v10, 0xffff, v10
	s_wait_loadcnt 0xe
	v_lshrrev_b32_e32 v151, 16, v125
	s_wait_loadcnt 0xd
	v_lshrrev_b32_e32 v159, 16, v126
	s_wait_dscnt 0x7
	s_delay_alu instid0(VALU_DEP_2) | instskip(SKIP_1) | instid1(VALU_DEP_2)
	v_mul_f16_e64 v157, v148, v151
	v_mul_f16_e64 v151, v121, v151
	v_fmac_f16_e64 v157, v121, v125
	s_wait_loadcnt 0xc
	v_lshrrev_b32_e32 v158, 16, v122
	s_delay_alu instid0(VALU_DEP_3) | instskip(SKIP_1) | instid1(VALU_DEP_2)
	v_fma_f16 v125, v148, v125, -v151
	s_wait_dscnt 0x6
	v_mul_f16_e64 v121, v149, v158
	v_mul_f16_e64 v148, v120, v158
	;; [unrolled: 1-line block ×3, first 2 shown]
	s_wait_loadcnt 0xb
	v_lshrrev_b32_e32 v151, 16, v127
	s_wait_dscnt 0x0
	v_sub_f16_e64 v125, v156, v125
	v_fmac_f16_e32 v121, v120, v122
	v_mul_f16_e64 v120, v150, v159
	v_fma_f16 v122, v149, v122, -v148
	v_mul_f16_e64 v148, v152, v151
	s_wait_loadcnt 0xa
	v_lshrrev_b32_e32 v149, 16, v124
	v_fmac_f16_e32 v120, v119, v126
	v_fma_f16 v126, v150, v126, -v158
	v_mul_f16_e64 v119, v118, v151
	v_fmac_f16_e64 v148, v118, v127
	v_mul_f16_e64 v118, v153, v149
	s_wait_loadcnt 0x8
	v_lshrrev_b32_e32 v150, 16, v130
	v_mul_f16_e64 v149, v116, v149
	ds_load_u16 v151, v27 offset:5632
	v_fma_f16 v127, v152, v127, -v119
	v_fmac_f16_e32 v118, v116, v124
	v_lshrrev_b32_e32 v116, 16, v131
	v_mul_f16_e64 v119, v154, v150
	v_fma_f16 v124, v153, v124, -v149
	ds_load_u16 v149, v27 offset:5888
	v_mul_f16_e64 v150, v114, v150
	v_mul_f16_e64 v152, v155, v116
	v_fmac_f16_e64 v119, v114, v130
	ds_load_u16 v114, v27 offset:6144
	v_mul_f16_e32 v116, v112, v116
	v_fma_f16 v130, v154, v130, -v150
	v_fmac_f16_e64 v152, v112, v131
	ds_load_u16 v112, v27 offset:6400
	s_wait_loadcnt 0x7
	v_lshrrev_b32_e32 v150, 16, v135
	ds_load_u16 v153, v27 offset:6656
	ds_load_u16 v154, v27 offset:6912
	;; [unrolled: 1-line block ×4, first 2 shown]
	v_fma_f16 v131, v155, v131, -v116
	s_wait_dscnt 0x7
	v_mul_f16_e64 v160, v151, v150
	v_mul_f16_e64 v150, v117, v150
	s_delay_alu instid0(VALU_DEP_2) | instskip(NEXT) | instid1(VALU_DEP_2)
	v_fmac_f16_e64 v160, v117, v135
	v_fma_f16 v135, v151, v135, -v150
	s_wait_loadcnt 0x6
	v_lshrrev_b32_e32 v161, 16, v136
	s_wait_loadcnt 0x5
	v_lshrrev_b32_e32 v116, 16, v138
	;; [unrolled: 2-line block ×3, first 2 shown]
	s_wait_dscnt 0x6
	v_mul_f16_e64 v117, v149, v161
	v_mul_f16_e64 v150, v115, v161
	s_wait_dscnt 0x5
	v_mul_f16_e64 v155, v114, v116
	s_delay_alu instid0(VALU_DEP_3)
	v_fmac_f16_e64 v117, v115, v136
	v_mul_f16_e32 v115, v113, v116
	v_fma_f16 v136, v149, v136, -v150
	s_wait_dscnt 0x4
	v_mul_f16_e64 v116, v112, v151
	s_wait_loadcnt 0x3
	v_lshrrev_b32_e32 v149, 16, v144
	v_fmac_f16_e64 v155, v113, v138
	v_mul_f16_e64 v113, v111, v151
	v_fma_f16 v138, v114, v138, -v115
	v_fmac_f16_e64 v116, v111, v143
	s_wait_dscnt 0x3
	v_mul_f16_e64 v111, v153, v149
	s_wait_loadcnt 0x2
	v_lshrrev_b32_e32 v114, 16, v145
	v_fma_f16 v143, v112, v143, -v113
	v_mul_f16_e64 v112, v110, v149
	s_wait_loadcnt 0x1
	v_lshrrev_b32_e32 v113, 16, v146
	v_fmac_f16_e64 v111, v110, v144
	s_wait_dscnt 0x2
	v_mul_f16_e64 v110, v154, v114
	s_wait_loadcnt 0x0
	v_lshrrev_b32_e32 v115, 16, v147
	v_fma_f16 v144, v153, v144, -v112
	s_wait_dscnt 0x1
	v_mul_f16_e64 v112, v158, v113
	v_mul_f16_e32 v114, v109, v114
	v_fmac_f16_e64 v110, v109, v145
	v_mul_f16_e32 v109, v108, v113
	v_mul_f16_e32 v113, v107, v115
	v_fmac_f16_e64 v112, v108, v146
	s_wait_dscnt 0x0
	v_mul_f16_e64 v108, v159, v115
	v_fma_f16 v145, v154, v145, -v114
	v_sub_f16_e64 v114, v106, v157
	v_fma_f16 v146, v158, v146, -v109
	v_sub_f16_e32 v109, v105, v121
	v_fmac_f16_e64 v108, v107, v147
	s_wait_alu 0xf1ff
	v_cndmask_b32_e64 v107, 0, 0x3c0, s0
	v_fma_f16 v106, v106, 2.0, -v114
	v_fma_f16 v147, v159, v147, -v113
	v_fma_f16 v105, v105, 2.0, -v109
	v_fma_f16 v149, v156, 2.0, -v125
	v_add3_u32 v2, 0, v107, v2
	ds_load_u16 v150, v45
	ds_load_u16 v151, v43
	;; [unrolled: 1-line block ×14, first 2 shown]
	global_wb scope:SCOPE_SE
	s_wait_dscnt 0x0
	s_barrier_signal -1
	s_barrier_wait -1
	global_inv scope:SCOPE_SE
	v_sub_f16_e32 v107, v47, v120
	ds_store_b16 v27, v106
	ds_store_b16 v27, v114 offset:480
	ds_store_b16 v2, v105
	ds_store_b16 v2, v109 offset:480
	v_sub_f16_e64 v106, v104, v148
	v_sub_f16_e32 v109, v103, v118
	v_lshl_add_u32 v120, v63, 1, 0
	v_fma_f16 v105, v47, 2.0, -v107
	v_lshl_add_u32 v47, v0, 1, 0
	v_fma_f16 v9, v104, 2.0, -v106
	v_fma_f16 v103, v103, 2.0, -v109
	v_lshlrev_b32_e32 v104, 1, v123
	ds_store_b16 v47, v105 offset:992
	ds_store_b16 v47, v107 offset:1472
	ds_store_b16 v8, v9
	ds_store_b16 v8, v106 offset:480
	ds_store_b16 v6, v103 offset:1920
	;; [unrolled: 1-line block ×3, first 2 shown]
	v_sub_f16_e32 v9, v100, v119
	v_sub_f16_e64 v103, v102, v152
	v_add3_u32 v7, 0, v7, v104
	v_lshlrev_b32_e32 v104, 1, v129
	v_sub_f16_e64 v105, v101, v160
	v_fma_f16 v100, v100, 2.0, -v9
	v_fma_f16 v102, v102, 2.0, -v103
	v_lshl_add_u32 v123, v128, 1, 0
	v_add3_u32 v121, 0, v65, v104
	v_fma_f16 v63, v101, 2.0, -v105
	ds_store_b16 v7, v100
	ds_store_b16 v7, v9 offset:480
	ds_store_b16 v120, v102 offset:2880
	;; [unrolled: 1-line block ×3, first 2 shown]
	ds_store_b16 v121, v63
	ds_store_b16 v121, v105 offset:480
	v_sub_f16_e32 v9, v98, v117
	v_mul_u32_u24_e32 v63, 0x3c0, v67
	v_lshlrev_b32_e32 v65, 1, v132
	v_sub_f16_e64 v67, v97, v155
	v_sub_f16_e32 v100, v99, v116
	v_fma_f16 v98, v98, 2.0, -v9
	v_lshl_add_u32 v129, v133, 1, 0
	v_add3_u32 v128, 0, v63, v65
	v_fma_f16 v63, v97, 2.0, -v67
	ds_store_b16 v123, v98 offset:3840
	ds_store_b16 v123, v9 offset:4320
	ds_store_b16 v128, v63
	ds_store_b16 v128, v67 offset:480
	v_mul_u32_u24_e32 v9, 0x3c0, v134
	v_lshlrev_b32_e32 v63, 1, v137
	v_fma_f16 v65, v99, 2.0, -v100
	v_sub_f16_e32 v67, v96, v111
	v_mul_u32_u24_e32 v97, 0x3c0, v140
	v_lshlrev_b32_e32 v98, 1, v141
	v_add3_u32 v9, 0, v9, v63
	v_sub_f16_e32 v63, v93, v110
	ds_store_b16 v129, v65 offset:4800
	ds_store_b16 v129, v100 offset:5280
	v_fma_f16 v65, v96, 2.0, -v67
	v_sub_f16_e32 v96, v94, v112
	v_sub_f16_e32 v99, v95, v108
	v_fma_f16 v93, v93, 2.0, -v63
	v_lshl_add_u32 v133, v139, 1, 0
	v_sub_f16_e64 v122, v150, v122
	v_add3_u32 v132, 0, v97, v98
	v_fma_f16 v94, v94, 2.0, -v96
	v_sub_f16_e64 v126, v151, v126
	v_fma_f16 v95, v95, 2.0, -v99
	v_lshl_add_u32 v134, v142, 1, 0
	ds_store_b16 v9, v65
	ds_store_b16 v9, v67 offset:480
	ds_store_b16 v133, v93 offset:5760
	;; [unrolled: 1-line block ×3, first 2 shown]
	ds_store_b16 v132, v94
	ds_store_b16 v132, v96 offset:480
	ds_store_b16 v134, v95 offset:6720
	;; [unrolled: 1-line block ×3, first 2 shown]
	global_wb scope:SCOPE_SE
	s_wait_dscnt 0x0
	s_barrier_signal -1
	s_barrier_wait -1
	global_inv scope:SCOPE_SE
	ds_load_u16 v98, v29
	ds_load_u16 v104, v27
	ds_load_u16 v119, v27 offset:3840
	ds_load_u16 v118, v27 offset:4096
	;; [unrolled: 1-line block ×7, first 2 shown]
	ds_load_u16 v94, v18
	ds_load_u16 v63, v19
	;; [unrolled: 1-line block ×13, first 2 shown]
	ds_load_u16 v115, v27 offset:5632
	ds_load_u16 v113, v27 offset:5888
	;; [unrolled: 1-line block ×8, first 2 shown]
	global_wb scope:SCOPE_SE
	s_wait_dscnt 0x0
	s_barrier_signal -1
	s_barrier_wait -1
	global_inv scope:SCOPE_SE
	v_fma_f16 v137, v150, 2.0, -v122
	ds_store_b16 v27, v149
	ds_store_b16 v27, v125 offset:480
	v_sub_f16_e64 v125, v161, v127
	v_fma_f16 v127, v151, 2.0, -v126
	v_sub_f16_e64 v124, v159, v124
	ds_store_b16 v2, v137
	ds_store_b16 v2, v122 offset:480
	ds_store_b16 v47, v127 offset:992
	;; [unrolled: 1-line block ×3, first 2 shown]
	v_fma_f16 v2, v161, 2.0, -v125
	v_sub_f16_e64 v122, v153, v130
	v_fma_f16 v126, v159, 2.0, -v124
	ds_store_b16 v8, v2
	ds_store_b16 v8, v125 offset:480
	v_sub_f16_e64 v2, v154, v131
	v_fma_f16 v8, v153, 2.0, -v122
	ds_store_b16 v6, v126 offset:1920
	ds_store_b16 v6, v124 offset:2400
	v_sub_f16_e64 v6, v156, v135
	v_sub_f16_e64 v124, v157, v136
	v_fma_f16 v125, v154, 2.0, -v2
	ds_store_b16 v7, v8
	ds_store_b16 v7, v122 offset:480
	v_sub_f16_e64 v122, v158, v138
	v_fma_f16 v7, v156, 2.0, -v6
	ds_store_b16 v120, v125 offset:2880
	ds_store_b16 v120, v2 offset:3360
	ds_store_b16 v121, v7
	ds_store_b16 v121, v6 offset:480
	v_sub_f16_e64 v6, v162, v143
	v_fma_f16 v8, v157, 2.0, -v124
	v_sub_f16_e64 v7, v163, v144
	v_sub_f16_e64 v120, v164, v145
	v_sub_f16_e64 v121, v165, v146
	v_sub_f16_e64 v125, v166, v147
	v_fma_f16 v2, v158, 2.0, -v122
	v_fma_f16 v126, v162, 2.0, -v6
	;; [unrolled: 1-line block ×6, first 2 shown]
	ds_store_b16 v123, v8 offset:3840
	ds_store_b16 v123, v124 offset:4320
	ds_store_b16 v128, v2
	ds_store_b16 v128, v122 offset:480
	ds_store_b16 v129, v126 offset:4800
	ds_store_b16 v129, v6 offset:5280
	ds_store_b16 v9, v127
	ds_store_b16 v9, v7 offset:480
	;; [unrolled: 4-line block ×3, first 2 shown]
	ds_store_b16 v134, v135 offset:6720
	ds_store_b16 v134, v125 offset:7200
	v_lshlrev_b64_e32 v[6:7], 2, v[61:62]
	v_add_nc_u32_e32 v2, 0xffffffa0, v0
	v_lshlrev_b64_e32 v[8:9], 2, v[59:60]
	global_wb scope:SCOPE_SE
	s_wait_dscnt 0x0
	s_barrier_signal -1
	s_barrier_wait -1
	v_add_co_u32 v6, s0, s4, v6
	s_wait_alu 0xf1ff
	v_add_co_ci_u32_e64 v7, s0, s5, v7, s0
	v_cmp_gt_u32_e64 s0, 0x1e0, v57
	global_inv scope:SCOPE_SE
	s_clause 0x3
	global_load_b32 v61, v[4:5], off offset:1880
	global_load_b32 v62, v[6:7], off offset:1880
	;; [unrolled: 1-line block ×4, first 2 shown]
	s_wait_alu 0xf1ff
	v_cndmask_b32_e64 v2, v2, v57, s0
	v_add_co_u32 v8, s0, s4, v8
	s_wait_alu 0xf1ff
	v_add_co_ci_u32_e64 v9, s0, s5, v9, s0
	s_delay_alu instid0(VALU_DEP_3)
	v_lshlrev_b64_e32 v[59:60], 2, v[2:3]
	v_mul_lo_u16 v125, 0x1e0, v13
	v_lshlrev_b32_e32 v126, 2, v17
	global_load_b32 v120, v[8:9], off offset:1880
	v_lshlrev_b32_e32 v127, 2, v16
	v_lshlrev_b32_e32 v128, 2, v14
	v_add_co_u32 v59, s0, s4, v59
	s_wait_alu 0xf1ff
	v_add_co_ci_u32_e64 v60, s0, s5, v60, s0
	v_sub_nc_u16 v125, v42, v125
	s_clause 0x3
	global_load_b32 v126, v126, s[4:5] offset:1880
	global_load_b32 v127, v127, s[4:5] offset:1880
	;; [unrolled: 1-line block ×3, first 2 shown]
	global_load_b32 v59, v[59:60], off offset:1880
	v_mul_lo_u16 v60, 0x1e0, v15
	global_load_b32 v123, v[4:5], off offset:3032
	v_and_b32_e32 v125, 0xffff, v125
	v_lshlrev_b32_e32 v130, 2, v12
	v_lshlrev_b32_e32 v131, 2, v11
	v_sub_nc_u16 v60, v38, v60
	v_lshlrev_b32_e32 v132, 2, v10
	v_lshlrev_b32_e32 v129, 2, v125
	global_load_b32 v130, v130, s[4:5] offset:1880
	v_cmp_lt_u32_e64 s0, 0x1df, v57
	v_and_b32_e32 v60, 0xffff, v60
	v_lshlrev_b32_e32 v2, 1, v2
	global_load_b32 v129, v129, s[4:5] offset:1880
	v_mul_u32_u24_e32 v15, 0x780, v15
	s_wait_alu 0xf1ff
	v_cndmask_b32_e64 v57, 0, 0x780, s0
	v_lshlrev_b32_e32 v124, 2, v60
	v_lshlrev_b32_e32 v60, 1, v60
	v_mul_u32_u24_e32 v13, 0x780, v13
	v_lshl_add_u32 v17, v17, 1, 0
	v_add3_u32 v2, 0, v57, v2
	s_clause 0x2
	global_load_b32 v124, v124, s[4:5] offset:1880
	global_load_b32 v131, v131, s[4:5] offset:1880
	;; [unrolled: 1-line block ×3, first 2 shown]
	ds_load_u16 v133, v27 offset:3840
	ds_load_u16 v134, v27 offset:4096
	;; [unrolled: 1-line block ×7, first 2 shown]
	ds_load_u16 v141, v27
	v_add3_u32 v15, 0, v15, v60
	v_lshl_add_u32 v14, v14, 1, 0
	v_lshl_add_u32 v12, v12, 1, 0
	;; [unrolled: 1-line block ×5, first 2 shown]
	s_wait_loadcnt 0xe
	v_lshrrev_b32_e32 v136, 16, v61
	s_wait_loadcnt 0xd
	v_lshrrev_b32_e32 v143, 16, v62
	s_wait_dscnt 0x7
	s_delay_alu instid0(VALU_DEP_2) | instskip(SKIP_1) | instid1(VALU_DEP_2)
	v_mul_f16_e64 v142, v133, v136
	v_mul_f16_e64 v136, v119, v136
	v_fmac_f16_e64 v142, v119, v61
	s_wait_dscnt 0x6
	v_mul_f16_e64 v119, v134, v143
	s_wait_loadcnt 0xa
	v_lshrrev_b32_e32 v144, 16, v120
	v_fma_f16 v61, v133, v61, -v136
	v_mul_f16_e64 v133, v118, v143
	v_fmac_f16_e32 v119, v118, v62
	s_wait_dscnt 0x5
	v_mul_f16_e64 v118, v135, v144
	v_mul_f16_e64 v143, v117, v144
	v_fma_f16 v62, v134, v62, -v133
	v_lshrrev_b32_e32 v134, 16, v121
	s_wait_dscnt 0x0
	v_sub_f16_e64 v61, v141, v61
	v_fmac_f16_e32 v118, v117, v120
	s_wait_loadcnt 0x6
	v_lshrrev_b32_e32 v136, 16, v59
	v_fma_f16 v117, v135, v120, -v143
	v_lshrrev_b32_e32 v135, 16, v122
	v_sub_f16_e32 v119, v103, v119
	v_sub_f16_e32 v118, v102, v118
	v_mul_f16_e64 v133, v137, v136
	v_mul_f16_e64 v120, v116, v136
	ds_load_u16 v136, v27 offset:5632
	v_fma_f16 v103, v103, 2.0, -v119
	v_fma_f16 v102, v102, 2.0, -v118
	v_fmac_f16_e64 v133, v116, v59
	v_mul_f16_e64 v116, v138, v134
	v_mul_f16_e64 v134, v114, v134
	v_fma_f16 v59, v137, v59, -v120
	s_wait_loadcnt 0x5
	v_lshrrev_b32_e32 v120, 16, v123
	ds_load_u16 v137, v27 offset:6144
	v_fmac_f16_e32 v116, v114, v121
	v_fma_f16 v121, v138, v121, -v134
	ds_load_u16 v134, v27 offset:5888
	v_mul_f16_e64 v114, v139, v135
	v_mul_f16_e64 v135, v112, v135
	s_delay_alu instid0(VALU_DEP_2) | instskip(SKIP_1) | instid1(VALU_DEP_3)
	v_fmac_f16_e32 v114, v112, v122
	v_mul_f16_e64 v112, v140, v120
	v_fma_f16 v122, v139, v122, -v135
	s_wait_loadcnt 0x2
	v_lshrrev_b32_e32 v135, 16, v124
	ds_load_u16 v138, v27 offset:6400
	ds_load_u16 v139, v27 offset:6656
	;; [unrolled: 1-line block ×5, first 2 shown]
	v_mul_f16_e32 v120, v108, v120
	v_fmac_f16_e32 v112, v108, v123
	v_lshrrev_b32_e32 v108, 16, v126
	s_wait_dscnt 0x7
	v_mul_f16_e64 v146, v136, v135
	v_mul_f16_e64 v135, v115, v135
	v_fma_f16 v120, v140, v123, -v120
	s_delay_alu instid0(VALU_DEP_3)
	v_fmac_f16_e64 v146, v115, v124
	v_lshrrev_b32_e32 v115, 16, v127
	s_wait_dscnt 0x5
	v_mul_f16_e64 v123, v134, v108
	v_mul_f16_e32 v108, v113, v108
	v_fma_f16 v124, v136, v124, -v135
	v_lshrrev_b32_e32 v135, 16, v128
	v_mul_f16_e64 v136, v137, v115
	v_fmac_f16_e32 v123, v113, v126
	v_mul_f16_e32 v113, v111, v115
	v_fma_f16 v108, v134, v126, -v108
	v_lshrrev_b32_e32 v126, 16, v129
	s_wait_dscnt 0x4
	v_mul_f16_e64 v115, v138, v135
	v_fmac_f16_e64 v136, v111, v127
	v_fma_f16 v111, v137, v127, -v113
	v_lshrrev_b32_e32 v127, 16, v130
	s_wait_dscnt 0x3
	v_mul_f16_e64 v134, v139, v126
	v_mul_f16_e64 v113, v110, v135
	v_fmac_f16_e64 v115, v110, v128
	v_mul_f16_e32 v110, v109, v126
	s_wait_dscnt 0x2
	v_mul_f16_e64 v126, v143, v127
	v_fmac_f16_e64 v134, v109, v129
	s_wait_loadcnt 0x1
	v_lshrrev_b32_e32 v109, 16, v131
	v_fma_f16 v113, v138, v128, -v113
	s_wait_loadcnt 0x0
	v_lshrrev_b32_e32 v128, 16, v132
	v_fmac_f16_e64 v126, v107, v130
	v_mul_f16_e32 v107, v107, v127
	s_wait_dscnt 0x1
	v_mul_f16_e64 v127, v144, v109
	v_mul_f16_e32 v109, v106, v109
	v_fma_f16 v110, v139, v129, -v110
	s_wait_dscnt 0x0
	v_mul_f16_e64 v129, v145, v128
	v_mul_f16_e64 v128, v105, v128
	v_fmac_f16_e64 v127, v106, v131
	v_fma_f16 v106, v144, v131, -v109
	v_sub_f16_e64 v109, v104, v142
	v_fma_f16 v107, v143, v130, -v107
	v_fmac_f16_e64 v129, v105, v132
	v_fma_f16 v105, v145, v132, -v128
	ds_load_u16 v128, v45
	ds_load_u16 v130, v43
	;; [unrolled: 1-line block ×3, first 2 shown]
	v_fma_f16 v104, v104, 2.0, -v109
	v_fma_f16 v132, v141, 2.0, -v61
	ds_load_u16 v135, v18
	ds_load_u16 v137, v19
	;; [unrolled: 1-line block ×11, first 2 shown]
	global_wb scope:SCOPE_SE
	s_wait_dscnt 0x0
	s_barrier_signal -1
	s_barrier_wait -1
	global_inv scope:SCOPE_SE
	ds_store_b16 v27, v104
	ds_store_b16 v27, v109 offset:960
	v_sub_f16_e64 v104, v101, v133
	ds_store_b16 v45, v103
	ds_store_b16 v45, v119 offset:960
	v_sub_f16_e32 v103, v100, v116
	ds_store_b16 v43, v102
	ds_store_b16 v43, v118 offset:960
	v_sub_f16_e32 v102, v94, v112
	v_fma_f16 v57, v101, 2.0, -v104
	v_sub_f16_e32 v101, v98, v114
	v_fma_f16 v100, v100, 2.0, -v103
	ds_store_b16 v2, v57
	ds_store_b16 v2, v104 offset:960
	v_fma_f16 v57, v98, 2.0, -v101
	v_sub_f16_e64 v98, v63, v146
	v_sub_f16_e32 v104, v67, v123
	v_sub_f16_e64 v109, v95, v136
	v_fma_f16 v94, v94, 2.0, -v102
	v_sub_f16_e64 v112, v93, v134
	v_fma_f16 v60, v63, 2.0, -v98
	v_fma_f16 v63, v67, 2.0, -v104
	;; [unrolled: 1-line block ×3, first 2 shown]
	v_sub_f16_e32 v95, v65, v115
	v_sub_f16_e32 v114, v96, v126
	ds_store_b16 v47, v100 offset:1984
	ds_store_b16 v47, v57 offset:2240
	;; [unrolled: 1-line block ×6, first 2 shown]
	ds_store_b16 v15, v60
	ds_store_b16 v15, v98 offset:960
	v_lshlrev_b32_e32 v57, 1, v125
	v_sub_f16_e32 v115, v97, v127
	v_sub_f16_e64 v116, v99, v129
	v_sub_f16_e64 v62, v128, v62
	v_fma_f16 v65, v65, 2.0, -v95
	v_fma_f16 v93, v93, 2.0, -v112
	;; [unrolled: 1-line block ×3, first 2 shown]
	v_add3_u32 v13, 0, v13, v57
	v_sub_f16_e64 v117, v130, v117
	v_fma_f16 v97, v97, 2.0, -v115
	v_sub_f16_e64 v59, v141, v59
	v_fma_f16 v99, v99, 2.0, -v116
	v_fma_f16 v128, v128, 2.0, -v62
	ds_store_b16 v17, v63 offset:3840
	ds_store_b16 v17, v104 offset:4800
	;; [unrolled: 1-line block ×6, first 2 shown]
	ds_store_b16 v13, v93
	ds_store_b16 v13, v112 offset:960
	ds_store_b16 v12, v96 offset:5760
	;; [unrolled: 1-line block ×7, first 2 shown]
	global_wb scope:SCOPE_SE
	s_wait_dscnt 0x0
	s_barrier_signal -1
	s_barrier_wait -1
	global_inv scope:SCOPE_SE
	ds_load_u16 v57, v29
	ds_load_u16 v60, v27
	ds_load_u16 v63, v27 offset:3840
	ds_load_u16 v65, v27 offset:4096
	;; [unrolled: 1-line block ×7, first 2 shown]
	ds_load_u16 v97, v18
	ds_load_u16 v98, v19
	;; [unrolled: 1-line block ×13, first 2 shown]
	ds_load_u16 v118, v27 offset:5632
	ds_load_u16 v119, v27 offset:5888
	;; [unrolled: 1-line block ×8, first 2 shown]
	global_wb scope:SCOPE_SE
	s_wait_dscnt 0x0
	s_barrier_signal -1
	s_barrier_wait -1
	global_inv scope:SCOPE_SE
	ds_store_b16 v27, v132
	ds_store_b16 v27, v61 offset:960
	v_fma_f16 v61, v130, 2.0, -v117
	v_fma_f16 v130, v141, 2.0, -v59
	ds_store_b16 v45, v128
	ds_store_b16 v45, v62 offset:960
	v_sub_f16_e64 v62, v140, v121
	ds_store_b16 v43, v61
	ds_store_b16 v43, v117 offset:960
	ds_store_b16 v2, v130
	ds_store_b16 v2, v59 offset:960
	v_sub_f16_e64 v59, v131, v122
	v_sub_f16_e64 v61, v135, v120
	v_fma_f16 v2, v140, 2.0, -v62
	v_sub_f16_e64 v117, v137, v124
	v_sub_f16_e64 v108, v138, v108
	;; [unrolled: 1-line block ×8, first 2 shown]
	v_fma_f16 v120, v131, 2.0, -v59
	v_fma_f16 v121, v135, 2.0, -v61
	;; [unrolled: 1-line block ×10, first 2 shown]
	ds_store_b16 v47, v2 offset:1984
	ds_store_b16 v47, v120 offset:2240
	;; [unrolled: 1-line block ×6, first 2 shown]
	ds_store_b16 v15, v122
	ds_store_b16 v15, v117 offset:960
	ds_store_b16 v17, v124 offset:3840
	;; [unrolled: 1-line block ×7, first 2 shown]
	ds_store_b16 v13, v131
	ds_store_b16 v13, v110 offset:960
	ds_store_b16 v12, v132 offset:5760
	;; [unrolled: 1-line block ×7, first 2 shown]
	v_lshlrev_b64_e32 v[10:11], 2, v[55:56]
	v_lshlrev_b64_e32 v[12:13], 2, v[53:54]
	global_wb scope:SCOPE_SE
	s_wait_dscnt 0x0
	s_barrier_signal -1
	s_barrier_wait -1
	global_inv scope:SCOPE_SE
	s_clause 0x2
	global_load_b32 v59, v[4:5], off offset:3800
	global_load_b32 v55, v[6:7], off offset:3800
	;; [unrolled: 1-line block ×3, first 2 shown]
	v_add_co_u32 v10, s0, s4, v10
	s_wait_alu 0xf1ff
	v_add_co_ci_u32_e64 v11, s0, s5, v11, s0
	v_add_co_u32 v12, s0, s4, v12
	s_wait_alu 0xf1ff
	v_add_co_ci_u32_e64 v13, s0, s5, v13, s0
	v_lshlrev_b64_e32 v[14:15], 2, v[51:52]
	s_clause 0x1
	global_load_b32 v51, v[10:11], off offset:3800
	global_load_b32 v52, v[12:13], off offset:3800
	v_add_nc_u32_e32 v2, 0xfffffc40, v38
	v_lshlrev_b64_e32 v[16:17], 2, v[49:50]
	v_add_co_u32 v14, s0, s4, v14
	s_wait_alu 0xf1ff
	v_add_co_ci_u32_e64 v15, s0, s5, v15, s0
	v_cmp_gt_u32_e64 s0, 0x3c0, v38
	global_load_b32 v54, v[14:15], off offset:3800
	s_wait_alu 0xf1ff
	v_cndmask_b32_e64 v2, v2, v38, s0
	v_add_co_u32 v16, s0, s4, v16
	s_wait_alu 0xf1ff
	v_add_co_ci_u32_e64 v17, s0, s5, v17, s0
	s_delay_alu instid0(VALU_DEP_3) | instskip(SKIP_1) | instid1(VALU_DEP_2)
	v_lshlrev_b64_e32 v[49:50], 2, v[2:3]
	v_lshlrev_b32_e32 v2, 1, v2
	v_add_co_u32 v49, s0, s4, v49
	s_wait_alu 0xf1ff
	s_delay_alu instid0(VALU_DEP_3)
	v_add_co_ci_u32_e64 v50, s0, s5, v50, s0
	s_clause 0x8
	global_load_b32 v56, v[16:17], off offset:3800
	global_load_b32 v49, v[49:50], off offset:3800
	;; [unrolled: 1-line block ×9, first 2 shown]
	ds_load_u16 v110, v27 offset:3840
	ds_load_u16 v111, v27 offset:4096
	;; [unrolled: 1-line block ×7, first 2 shown]
	ds_load_u16 v128, v27
	v_cmp_lt_u32_e64 s0, 0x3bf, v38
	s_wait_loadcnt 0xe
	v_lshrrev_b32_e32 v117, 16, v59
	s_wait_loadcnt 0xd
	v_lshrrev_b32_e32 v131, 16, v55
	;; [unrolled: 2-line block ×3, first 2 shown]
	s_wait_dscnt 0x7
	v_mul_f16_e64 v130, v110, v117
	v_mul_f16_e32 v117, v63, v117
	s_delay_alu instid0(VALU_DEP_2) | instskip(NEXT) | instid1(VALU_DEP_2)
	v_fmac_f16_e64 v130, v63, v59
	v_fma_f16 v59, v110, v59, -v117
	s_wait_loadcnt 0xb
	v_lshrrev_b32_e32 v110, 16, v51
	s_wait_dscnt 0x6
	v_mul_f16_e64 v63, v111, v131
	v_mul_f16_e64 v131, v65, v131
	s_wait_dscnt 0x0
	v_sub_f16_e64 v142, v128, v59
	v_mul_f16_e32 v117, v120, v110
	v_mul_f16_e32 v110, v93, v110
	v_fmac_f16_e32 v63, v65, v55
	v_fma_f16 v111, v111, v55, -v131
	v_mul_f16_e64 v55, v113, v132
	v_mul_f16_e64 v65, v67, v132
	s_wait_loadcnt 0xa
	v_lshrrev_b32_e32 v131, 16, v52
	v_fmac_f16_e32 v117, v93, v51
	v_fma_f16 v110, v120, v51, -v110
	ds_load_u16 v51, v27 offset:5632
	v_fmac_f16_e32 v55, v67, v53
	v_fma_f16 v113, v113, v53, -v65
	v_mul_f16_e64 v53, v121, v131
	s_wait_loadcnt 0x9
	v_lshrrev_b32_e32 v65, 16, v54
	v_mul_f16_e64 v131, v94, v131
	ds_load_u16 v67, v27 offset:5888
	ds_load_u16 v93, v27 offset:6144
	;; [unrolled: 1-line block ×7, first 2 shown]
	v_sub_f16_e32 v55, v114, v55
	v_fmac_f16_e32 v53, v94, v52
	v_mul_f16_e32 v94, v122, v65
	s_wait_loadcnt 0x8
	v_lshrrev_b32_e32 v137, 16, v56
	v_mul_f16_e32 v65, v95, v65
	s_wait_loadcnt 0x7
	v_lshrrev_b32_e32 v138, 16, v49
	v_fma_f16 v121, v121, v52, -v131
	v_fmac_f16_e32 v94, v95, v54
	v_mul_f16_e64 v52, v124, v137
	v_mul_f16_e64 v95, v96, v137
	v_fma_f16 v122, v122, v54, -v65
	s_wait_loadcnt 0x6
	v_lshrrev_b32_e32 v54, 16, v50
	v_sub_f16_e32 v94, v57, v94
	s_wait_dscnt 0x7
	v_mul_f16_e64 v131, v51, v138
	v_fmac_f16_e32 v52, v96, v56
	v_fma_f16 v124, v124, v56, -v95
	v_mul_f16_e64 v56, v118, v138
	s_wait_dscnt 0x6
	v_mul_f16_e32 v65, v67, v54
	v_fmac_f16_e64 v131, v118, v49
	s_wait_loadcnt 0x5
	v_lshrrev_b32_e32 v95, 16, v61
	v_sub_f16_e32 v53, v101, v53
	v_fma_f16 v49, v51, v49, -v56
	v_mul_f16_e32 v51, v119, v54
	v_fmac_f16_e32 v65, v119, v50
	s_wait_dscnt 0x5
	v_mul_f16_e32 v54, v93, v95
	s_wait_loadcnt 0x4
	v_lshrrev_b32_e32 v56, 16, v62
	v_sub_f16_e32 v52, v97, v52
	v_fma_f16 v138, v67, v50, -v51
	v_mul_f16_e32 v50, v123, v95
	v_fmac_f16_e32 v54, v123, v61
	s_wait_dscnt 0x4
	v_mul_f16_e32 v51, v120, v56
	v_mul_f16_e32 v56, v125, v56
	s_wait_loadcnt 0x3
	v_lshrrev_b32_e32 v67, 16, v105
	v_fma_f16 v123, v93, v61, -v50
	s_wait_loadcnt 0x2
	v_lshrrev_b32_e32 v50, 16, v106
	v_fmac_f16_e32 v51, v125, v62
	v_fma_f16 v120, v120, v62, -v56
	s_wait_dscnt 0x3
	v_mul_f16_e64 v56, v132, v67
	v_mul_f16_e32 v61, v126, v67
	s_wait_dscnt 0x2
	v_mul_f16_e64 v62, v134, v50
	v_mul_f16_e32 v50, v127, v50
	s_wait_loadcnt 0x1
	v_lshrrev_b32_e32 v67, 16, v107
	v_fmac_f16_e32 v56, v126, v105
	v_fma_f16 v125, v132, v105, -v61
	v_fmac_f16_e32 v62, v127, v106
	v_fma_f16 v126, v134, v106, -v50
	s_wait_dscnt 0x1
	v_mul_f16_e64 v50, v135, v67
	v_mul_f16_e64 v61, v129, v67
	s_wait_loadcnt 0x0
	v_lshrrev_b32_e32 v67, 16, v108
	v_fma_f16 v95, v114, 2.0, -v55
	ds_load_u16 v118, v45
	ds_load_u16 v137, v43
	v_fmac_f16_e64 v50, v129, v107
	v_fma_f16 v107, v135, v107, -v61
	v_sub_f16_e64 v61, v60, v130
	s_wait_dscnt 0x2
	v_mul_f16_e64 v93, v136, v67
	v_mul_f16_e64 v67, v133, v67
	ds_load_u16 v119, v29
	ds_load_u16 v127, v18
	;; [unrolled: 1-line block ×5, first 2 shown]
	v_fma_f16 v59, v60, 2.0, -v61
	v_sub_f16_e32 v60, v115, v63
	v_sub_f16_e32 v63, v102, v117
	v_fmac_f16_e64 v93, v133, v108
	v_fma_f16 v108, v136, v108, -v67
	ds_load_u16 v129, v88
	ds_load_u16 v135, v87
	;; [unrolled: 1-line block ×3, first 2 shown]
	v_fma_f16 v67, v115, 2.0, -v60
	ds_load_u16 v130, v89
	ds_load_u16 v133, v90
	;; [unrolled: 1-line block ×4, first 2 shown]
	v_fma_f16 v96, v102, 2.0, -v63
	v_sub_f16_e64 v102, v98, v131
	v_sub_f16_e32 v65, v99, v65
	v_sub_f16_e32 v54, v100, v54
	;; [unrolled: 1-line block ×6, first 2 shown]
	global_wb scope:SCOPE_SE
	s_wait_dscnt 0x0
	s_barrier_signal -1
	s_barrier_wait -1
	global_inv scope:SCOPE_SE
	ds_store_b16 v27, v59
	ds_store_b16 v27, v61 offset:1920
	ds_store_b16 v45, v67
	ds_store_b16 v45, v60 offset:1920
	;; [unrolled: 2-line block ×3, first 2 shown]
	s_wait_alu 0xf1ff
	v_cndmask_b32_e64 v55, 0, 0xf00, s0
	v_fma_f16 v57, v57, 2.0, -v94
	v_sub_f16_e32 v93, v116, v93
	v_fma_f16 v101, v101, 2.0, -v53
	v_fma_f16 v97, v97, 2.0, -v52
	;; [unrolled: 1-line block ×9, first 2 shown]
	v_add3_u32 v112, 0, v55, v2
	v_fma_f16 v109, v116, 2.0, -v93
	ds_store_b16 v87, v96
	ds_store_b16 v87, v63 offset:1920
	ds_store_b16 v88, v101
	ds_store_b16 v88, v53 offset:1920
	;; [unrolled: 2-line block ×5, first 2 shown]
	ds_store_b16 v47, v99 offset:3968
	ds_store_b16 v47, v100 offset:4224
	;; [unrolled: 1-line block ×14, first 2 shown]
	global_wb scope:SCOPE_SE
	s_wait_dscnt 0x0
	s_barrier_signal -1
	s_barrier_wait -1
	global_inv scope:SCOPE_SE
	ds_load_u16 v50, v29
	ds_load_u16 v2, v27
	ds_load_u16 v67, v27 offset:3840
	ds_load_u16 v93, v27 offset:4096
	;; [unrolled: 1-line block ×7, first 2 shown]
	ds_load_u16 v51, v18
	ds_load_u16 v54, v19
	ds_load_u16 v56, v20
	ds_load_u16 v59, v21
	ds_load_u16 v53, v88
	ds_load_u16 v52, v87
	ds_load_u16 v60, v31
	ds_load_u16 v61, v89
	ds_load_u16 v62, v90
	ds_load_u16 v63, v91
	ds_load_u16 v57, v43
	ds_load_u16 v55, v45
	ds_load_u16 v65, v92
	ds_load_u16 v99, v27 offset:5632
	ds_load_u16 v100, v27 offset:5888
	;; [unrolled: 1-line block ×8, first 2 shown]
	v_sub_f16_e32 v109, v118, v111
	v_sub_f16_e64 v111, v137, v113
	v_fma_f16 v117, v128, 2.0, -v142
	v_sub_f16_e64 v110, v135, v110
	v_sub_f16_e64 v113, v129, v121
	v_fma_f16 v114, v118, 2.0, -v109
	v_sub_f16_e32 v118, v119, v122
	v_sub_f16_e32 v121, v127, v124
	v_sub_f16_e64 v49, v132, v49
	v_sub_f16_e64 v122, v134, v138
	;; [unrolled: 1-line block ×8, first 2 shown]
	v_fma_f16 v115, v137, 2.0, -v111
	global_wb scope:SCOPE_SE
	s_wait_dscnt 0x0
	s_barrier_signal -1
	s_barrier_wait -1
	global_inv scope:SCOPE_SE
	ds_store_b16 v27, v117
	v_fma_f16 v116, v135, 2.0, -v110
	v_fma_f16 v117, v129, 2.0, -v113
	v_fma_f16 v119, v119, 2.0, -v118
	v_fma_f16 v124, v127, 2.0, -v121
	v_fma_f16 v127, v132, 2.0, -v49
	v_fma_f16 v128, v134, 2.0, -v122
	v_fma_f16 v129, v139, 2.0, -v123
	v_fma_f16 v131, v140, 2.0, -v120
	v_fma_f16 v130, v130, 2.0, -v125
	v_fma_f16 v132, v133, 2.0, -v126
	v_fma_f16 v133, v136, 2.0, -v107
	v_fma_f16 v134, v141, 2.0, -v108
	ds_store_b16 v27, v142 offset:1920
	ds_store_b16 v45, v114
	ds_store_b16 v45, v109 offset:1920
	ds_store_b16 v43, v115
	;; [unrolled: 2-line block ×7, first 2 shown]
	ds_store_b16 v112, v49 offset:1920
	ds_store_b16 v47, v128 offset:3968
	;; [unrolled: 1-line block ×15, first 2 shown]
	global_wb scope:SCOPE_SE
	s_wait_dscnt 0x0
	s_barrier_signal -1
	s_barrier_wait -1
	global_inv scope:SCOPE_SE
	s_and_saveexec_b32 s0, vcc_lo
	s_cbranch_execz .LBB0_15
; %bb.14:
	v_mov_b32_e32 v49, v3
	v_mov_b32_e32 v43, v3
	;; [unrolled: 1-line block ×4, first 2 shown]
	s_delay_alu instid0(VALU_DEP_4) | instskip(NEXT) | instid1(VALU_DEP_4)
	v_lshlrev_b64_e32 v[48:49], 2, v[48:49]
	v_lshlrev_b64_e32 v[107:108], 2, v[42:43]
	s_delay_alu instid0(VALU_DEP_3) | instskip(NEXT) | instid1(VALU_DEP_3)
	v_lshlrev_b64_e32 v[44:45], 2, v[44:45]
	v_add_co_u32 v42, vcc_lo, s4, v48
	s_wait_alu 0xfffd
	s_delay_alu instid0(VALU_DEP_4) | instskip(SKIP_2) | instid1(VALU_DEP_1)
	v_add_co_ci_u32_e32 v43, vcc_lo, s5, v49, vcc_lo
	global_load_b32 v111, v[42:43], off offset:7640
	v_mov_b32_e32 v42, v3
	v_lshlrev_b64_e32 v[48:49], 2, v[41:42]
	v_mov_b32_e32 v41, v3
	s_delay_alu instid0(VALU_DEP_1) | instskip(SKIP_2) | instid1(VALU_DEP_2)
	v_lshlrev_b64_e32 v[41:42], 2, v[40:41]
	v_mov_b32_e32 v40, v3
	v_lshlrev_b64_e32 v[46:47], 2, v[46:47]
	v_lshlrev_b64_e32 v[109:110], 2, v[39:40]
	v_mov_b32_e32 v39, v3
	s_delay_alu instid0(VALU_DEP_3) | instskip(SKIP_1) | instid1(VALU_DEP_4)
	v_add_co_u32 v46, vcc_lo, s4, v46
	s_wait_alu 0xfffd
	v_add_co_ci_u32_e32 v47, vcc_lo, s5, v47, vcc_lo
	v_add_co_u32 v43, vcc_lo, s4, v44
	s_wait_alu 0xfffd
	v_add_co_ci_u32_e32 v44, vcc_lo, s5, v45, vcc_lo
	;; [unrolled: 3-line block ×4, first 2 shown]
	v_add_co_u32 v40, vcc_lo, s4, v41
	v_lshlrev_b64_e32 v[38:39], 2, v[38:39]
	s_wait_alu 0xfffd
	v_add_co_ci_u32_e32 v41, vcc_lo, s5, v42, vcc_lo
	v_add_co_u32 v109, vcc_lo, s4, v109
	s_wait_alu 0xfffd
	v_add_co_ci_u32_e32 v110, vcc_lo, s5, v110, vcc_lo
	v_add_co_u32 v38, vcc_lo, s4, v38
	s_wait_alu 0xfffd
	v_add_co_ci_u32_e32 v39, vcc_lo, s5, v39, vcc_lo
	s_clause 0xd
	global_load_b32 v47, v[46:47], off offset:7640
	global_load_b32 v112, v[43:44], off offset:7640
	;; [unrolled: 1-line block ×14, first 2 shown]
	v_mad_co_u64_u32 v[5:6], null, s8, v84, 0
	v_mad_co_u64_u32 v[7:8], null, s8, v30, 0
	v_mad_co_u64_u32 v[13:14], null, s8, v86, 0
	v_mad_co_u64_u32 v[15:16], null, s8, v32, 0
	ds_load_u16 v92, v92
	ds_load_u16 v91, v91
	;; [unrolled: 1-line block ×4, first 2 shown]
	ds_load_u16 v119, v27 offset:7424
	ds_load_u16 v120, v27 offset:7168
	;; [unrolled: 1-line block ×8, first 2 shown]
	ds_load_u16 v127, v21
	ds_load_u16 v128, v20
	ds_load_u16 v129, v19
	ds_load_u16 v130, v18
	ds_load_u16 v88, v88
	ds_load_u16 v87, v87
	ds_load_u16 v131, v31
	ds_load_u16 v132, v29
	ds_load_u16 v133, v27 offset:5376
	ds_load_u16 v134, v27 offset:5120
	;; [unrolled: 1-line block ×7, first 2 shown]
	ds_load_u16 v140, v27
	v_mad_co_u64_u32 v[17:18], null, s8, v82, 0
	v_mad_co_u64_u32 v[19:20], null, s8, v28, 0
	v_mul_i32_i24_e32 v42, 0xffffffee, v36
	v_mul_i32_i24_e32 v43, 0xffffffee, v33
	v_mul_lo_u32 v21, s9, v0
	v_mad_co_u64_u32 v[3:4], null, s8, v0, 0
	v_add_co_u32 v0, vcc_lo, s10, v34
	s_delay_alu instid0(VALU_DEP_4)
	v_add_nc_u32_e32 v29, v25, v43
	v_add_nc_u32_e32 v31, v23, v42
	v_mad_co_u64_u32 v[42:43], null, s9, v84, v[6:7]
	v_mad_co_u64_u32 v[43:44], null, s9, v86, v[14:15]
	v_mul_lo_u32 v27, s8, v1
	s_wait_alu 0xfffd
	v_add_co_ci_u32_e32 v1, vcc_lo, s11, v35, vcc_lo
	v_mad_co_u64_u32 v[9:10], null, s8, v85, 0
	v_mad_co_u64_u32 v[35:36], null, s8, v24, 0
	;; [unrolled: 1-line block ×6, first 2 shown]
	v_mov_b32_e32 v23, v36
	v_dual_mov_b32 v25, v39 :: v_dual_mov_b32 v14, v43
	v_mov_b32_e32 v18, v44
	ds_load_u16 v36, v29
	ds_load_u16 v39, v31
	v_mad_co_u64_u32 v[29:30], null, s9, v30, v[8:9]
	v_mad_co_u64_u32 v[30:31], null, s9, v85, v[10:11]
	;; [unrolled: 1-line block ×3, first 2 shown]
	v_add3_u32 v4, v4, v27, v21
	v_mov_b32_e32 v21, v34
	v_mad_co_u64_u32 v[26:27], null, s9, v26, v[12:13]
	v_mov_b32_e32 v6, v42
	s_delay_alu instid0(VALU_DEP_4)
	v_lshlrev_b64_e32 v[3:4], 2, v[3:4]
	v_mov_b32_e32 v16, v31
	v_mad_co_u64_u32 v[27:28], null, s9, v28, v[20:21]
	v_mad_co_u64_u32 v[45:46], null, s9, v83, v[21:22]
	v_mov_b32_e32 v8, v29
	v_lshlrev_b64_e32 v[5:6], 2, v[5:6]
	v_mov_b32_e32 v10, v30
	v_add_co_u32 v3, vcc_lo, v0, v3
	v_mov_b32_e32 v20, v27
	v_mad_co_u64_u32 v[23:24], null, s9, v24, v[23:24]
	v_mov_b32_e32 v34, v45
	v_mov_b32_e32 v12, v26
	v_lshlrev_b64_e32 v[7:8], 2, v[7:8]
	s_wait_alu 0xfffd
	v_add_co_ci_u32_e32 v4, vcc_lo, v1, v4, vcc_lo
	v_lshlrev_b64_e32 v[26:27], 2, v[33:34]
	v_lshlrev_b64_e32 v[9:10], 2, v[9:10]
	v_add_co_u32 v5, vcc_lo, v0, v5
	s_wait_alu 0xfffd
	v_add_co_ci_u32_e32 v6, vcc_lo, v1, v6, vcc_lo
	v_lshlrev_b64_e32 v[11:12], 2, v[11:12]
	v_add_co_u32 v7, vcc_lo, v0, v7
	s_wait_alu 0xfffd
	v_add_co_ci_u32_e32 v8, vcc_lo, v1, v8, vcc_lo
	;; [unrolled: 4-line block ×5, first 2 shown]
	v_lshlrev_b64_e32 v[19:20], 2, v[19:20]
	v_add_co_u32 v15, vcc_lo, v0, v15
	v_mad_co_u64_u32 v[40:41], null, s8, v22, 0
	s_wait_alu 0xfffd
	v_add_co_ci_u32_e32 v16, vcc_lo, v1, v16, vcc_lo
	v_add_co_u32 v17, vcc_lo, v0, v17
	s_wait_alu 0xfffd
	v_add_co_ci_u32_e32 v18, vcc_lo, v1, v18, vcc_lo
	v_add_co_u32 v19, vcc_lo, v0, v19
	s_wait_alu 0xfffd
	v_add_co_ci_u32_e32 v20, vcc_lo, v1, v20, vcc_lo
	s_wait_loadcnt 0xe
	v_lshrrev_b32_e32 v21, 16, v111
	s_wait_dscnt 0x19
	s_delay_alu instid0(VALU_DEP_1) | instskip(SKIP_1) | instid1(VALU_DEP_2)
	v_mul_f16_e32 v83, v21, v119
	v_mul_f16_e32 v21, v106, v21
	v_fmac_f16_e32 v83, v106, v111
	s_delay_alu instid0(VALU_DEP_2) | instskip(NEXT) | instid1(VALU_DEP_1)
	v_fma_f16 v21, v111, v119, -v21
	v_sub_f16_e32 v21, v92, v21
	s_delay_alu instid0(VALU_DEP_1)
	v_fma_f16 v92, v92, 2.0, -v21
	s_wait_loadcnt 0xd
	v_lshrrev_b32_e32 v24, 16, v47
	s_wait_loadcnt 0xc
	v_lshrrev_b32_e32 v28, 16, v112
	;; [unrolled: 2-line block ×5, first 2 shown]
	s_wait_dscnt 0x18
	v_mul_f16_e32 v84, v24, v120
	s_wait_loadcnt 0x7
	v_lshrrev_b32_e32 v33, 16, v109
	v_mul_f16_e32 v24, v105, v24
	s_wait_loadcnt 0x6
	v_lshrrev_b32_e32 v34, 16, v110
	s_wait_loadcnt 0x5
	v_lshrrev_b32_e32 v42, 16, v113
	;; [unrolled: 2-line block ×6, first 2 shown]
	v_lshrrev_b32_e32 v43, 16, v114
	s_wait_dscnt 0x12
	v_mul_f16_e64 v144, v33, v126
	s_wait_dscnt 0x5
	v_mul_f16_e64 v149, v45, v137
	;; [unrolled: 2-line block ×4, first 2 shown]
	v_mul_f16_e32 v82, v67, v82
	v_mul_f16_e32 v46, v93, v46
	;; [unrolled: 1-line block ×3, first 2 shown]
	v_mul_f16_e64 v148, v44, v136
	v_mul_f16_e32 v44, v95, v44
	v_fmac_f16_e32 v84, v105, v47
	v_fma_f16 v24, v47, v120, -v24
	v_fmac_f16_e64 v151, v67, v118
	v_fma_f16 v47, v118, v139, -v82
	v_mul_f16_e64 v145, v34, v133
	v_fmac_f16_e64 v150, v93, v117
	v_fma_f16 v46, v117, v138, -v46
	v_mul_f16_e64 v146, v42, v134
	v_fmac_f16_e64 v149, v94, v116
	v_fma_f16 v45, v116, v137, -v45
	v_mul_f16_e32 v33, v99, v33
	v_mul_f16_e64 v147, v43, v135
	v_mul_f16_e32 v43, v96, v43
	v_fmac_f16_e64 v144, v99, v109
	v_fmac_f16_e64 v148, v95, v115
	v_fma_f16 v44, v115, v136, -v44
	v_sub_f16_e64 v99, v2, v151
	s_wait_dscnt 0x2
	v_sub_f16_e64 v47, v140, v47
	v_mul_f16_e32 v34, v98, v34
	v_fmac_f16_e64 v145, v98, v110
	v_sub_f16_e64 v98, v55, v150
	s_wait_dscnt 0x0
	v_sub_f16_e32 v46, v39, v46
	v_mul_f16_e32 v42, v97, v42
	v_fmac_f16_e64 v146, v97, v113
	v_sub_f16_e64 v97, v57, v149
	v_sub_f16_e32 v45, v36, v45
	v_fmac_f16_e64 v147, v96, v114
	v_fma_f16 v43, v114, v135, -v43
	v_sub_f16_e64 v96, v52, v148
	v_sub_f16_e32 v44, v87, v44
	v_fma_f16 v2, v2, 2.0, -v99
	v_fma_f16 v106, v140, 2.0, -v47
	;; [unrolled: 1-line block ×6, first 2 shown]
	v_sub_f16_e64 v95, v53, v147
	v_sub_f16_e32 v43, v88, v43
	v_fma_f16 v52, v52, 2.0, -v96
	v_fma_f16 v87, v87, 2.0, -v44
	v_pack_b32_f16 v2, v2, v106
	v_pack_b32_f16 v47, v99, v47
	;; [unrolled: 1-line block ×5, first 2 shown]
	v_fma_f16 v53, v53, 2.0, -v95
	v_fma_f16 v88, v88, 2.0, -v43
	v_pack_b32_f16 v45, v97, v45
	v_pack_b32_f16 v52, v52, v87
	s_clause 0x6
	global_store_b32 v[3:4], v2, off
	global_store_b32 v[5:6], v47, off
	;; [unrolled: 1-line block ×7, first 2 shown]
	v_mad_co_u64_u32 v[4:5], null, s9, v81, v[25:26]
	v_add_co_u32 v2, vcc_lo, v0, v26
	v_pack_b32_f16 v6, v95, v43
	v_dual_mov_b32 v36, v23 :: v_dual_mov_b32 v5, v41
	v_pack_b32_f16 v44, v96, v44
	s_wait_alu 0xfffd
	v_add_co_ci_u32_e32 v3, vcc_lo, v1, v27, vcc_lo
	v_pack_b32_f16 v53, v53, v88
	v_mov_b32_e32 v39, v4
	v_mad_co_u64_u32 v[4:5], null, s9, v22, v[5:6]
	s_clause 0x2
	global_store_b32 v[17:18], v44, off
	global_store_b32 v[19:20], v53, off
	;; [unrolled: 1-line block ×3, first 2 shown]
	v_mad_co_u64_u32 v[5:6], null, s8, v80, 0
	v_mad_co_u64_u32 v[9:10], null, s8, v76, 0
	v_fma_f16 v34, v110, v133, -v34
	v_fma_f16 v42, v113, v134, -v42
	v_lshlrev_b64_e32 v[2:3], 2, v[35:36]
	v_dual_mov_b32 v41, v4 :: v_dual_mov_b32 v4, v6
	v_lshlrev_b64_e32 v[7:8], 2, v[38:39]
	v_mul_f16_e32 v85, v28, v121
	v_sub_f16_e64 v93, v51, v145
	v_sub_f16_e64 v34, v130, v34
	;; [unrolled: 1-line block ×4, first 2 shown]
	v_add_co_u32 v2, vcc_lo, v0, v2
	v_mad_co_u64_u32 v[13:14], null, s9, v80, v[4:5]
	v_mov_b32_e32 v4, v10
	v_lshlrev_b64_e32 v[11:12], 2, v[40:41]
	s_wait_alu 0xfffd
	v_add_co_ci_u32_e32 v3, vcc_lo, v1, v3, vcc_lo
	v_mul_f16_e32 v28, v104, v28
	v_fmac_f16_e32 v85, v104, v112
	v_fma_f16 v51, v51, 2.0, -v93
	v_fma_f16 v104, v130, 2.0, -v34
	;; [unrolled: 1-line block ×4, first 2 shown]
	v_add_co_u32 v7, vcc_lo, v0, v7
	s_wait_alu 0xfffd
	v_add_co_ci_u32_e32 v8, vcc_lo, v1, v8, vcc_lo
	v_mad_co_u64_u32 v[16:17], null, s9, v76, v[4:5]
	v_add_co_u32 v10, vcc_lo, v0, v11
	v_pack_b32_f16 v18, v50, v105
	s_wait_alu 0xfffd
	v_add_co_ci_u32_e32 v11, vcc_lo, v1, v12, vcc_lo
	v_pack_b32_f16 v4, v51, v104
	v_pack_b32_f16 v19, v94, v42
	v_mad_co_u64_u32 v[14:15], null, s8, v79, 0
	v_mov_b32_e32 v6, v13
	s_clause 0x2
	global_store_b32 v[2:3], v18, off
	global_store_b32 v[7:8], v19, off
	;; [unrolled: 1-line block ×3, first 2 shown]
	v_mov_b32_e32 v10, v16
	v_mul_f16_e32 v86, v29, v122
	v_lshlrev_b64_e32 v[3:4], 2, v[5:6]
	v_fma_f16 v33, v109, v126, -v33
	v_mul_f16_e32 v29, v103, v29
	v_lshlrev_b64_e32 v[8:9], 2, v[9:10]
	v_mad_co_u64_u32 v[10:11], null, s8, v78, 0
	v_mov_b32_e32 v2, v15
	v_fmac_f16_e32 v86, v103, v107
	v_sub_f16_e64 v33, v129, v33
	v_pack_b32_f16 v18, v93, v34
	v_lshrrev_b32_e32 v32, 16, v108
	v_mad_co_u64_u32 v[5:6], null, s9, v79, v[2:3]
	v_mad_co_u64_u32 v[6:7], null, s8, v75, 0
	v_add_co_u32 v2, vcc_lo, v0, v3
	s_wait_alu 0xfffd
	v_add_co_ci_u32_e32 v3, vcc_lo, v1, v4, vcc_lo
	s_delay_alu instid0(VALU_DEP_4)
	v_mov_b32_e32 v15, v5
	v_sub_f16_e32 v82, v61, v86
	v_mov_b32_e32 v4, v7
	v_sub_f16_e64 v86, v54, v144
	v_fma_f16 v103, v129, 2.0, -v33
	v_lshlrev_b64_e32 v[12:13], 2, v[14:15]
	v_add_co_u32 v8, vcc_lo, v0, v8
	v_mad_co_u64_u32 v[4:5], null, s9, v75, v[4:5]
	v_mov_b32_e32 v5, v11
	v_fma_f16 v54, v54, 2.0, -v86
	v_mad_co_u64_u32 v[14:15], null, s8, v74, 0
	s_wait_alu 0xfffd
	v_add_co_ci_u32_e32 v9, vcc_lo, v1, v9, vcc_lo
	v_mad_co_u64_u32 v[16:17], null, s9, v78, v[5:6]
	v_add_co_u32 v11, vcc_lo, v0, v12
	v_mov_b32_e32 v7, v4
	v_pack_b32_f16 v19, v54, v103
	s_wait_alu 0xfffd
	v_add_co_ci_u32_e32 v12, vcc_lo, v1, v13, vcc_lo
	v_pack_b32_f16 v5, v86, v33
	s_clause 0x1
	global_store_b32 v[2:3], v18, off
	global_store_b32 v[8:9], v19, off
	v_lshlrev_b64_e32 v[3:4], 2, v[6:7]
	v_mov_b32_e32 v2, v15
	v_mad_co_u64_u32 v[8:9], null, s8, v77, 0
	global_store_b32 v[11:12], v5, off
	v_mov_b32_e32 v11, v16
	v_mul_f16_e64 v143, v32, v125
	v_mul_f16_e32 v32, v100, v32
	v_mad_co_u64_u32 v[5:6], null, s9, v74, v[2:3]
	s_delay_alu instid0(VALU_DEP_4)
	v_lshlrev_b64_e32 v[6:7], 2, v[10:11]
	v_mul_f16_e64 v142, v31, v124
	v_mul_f16_e32 v31, v101, v31
	v_add_co_u32 v2, vcc_lo, v0, v3
	v_fmac_f16_e64 v143, v100, v108
	v_mov_b32_e32 v15, v5
	v_fma_f16 v32, v108, v125, -v32
	s_wait_alu 0xfffd
	v_add_co_ci_u32_e32 v3, vcc_lo, v1, v4, vcc_lo
	v_fmac_f16_e64 v142, v101, v49
	v_fma_f16 v31, v49, v124, -v31
	v_add_co_u32 v4, vcc_lo, v0, v6
	v_mad_co_u64_u32 v[11:12], null, s8, v73, 0
	v_mov_b32_e32 v6, v9
	v_mul_f16_e64 v141, v30, v123
	v_sub_f16_e32 v67, v62, v85
	v_sub_f16_e64 v85, v56, v143
	v_sub_f16_e64 v32, v128, v32
	v_sub_f16_e32 v49, v63, v84
	v_sub_f16_e64 v84, v59, v142
	v_sub_f16_e32 v31, v127, v31
	s_wait_alu 0xfffd
	v_add_co_ci_u32_e32 v5, vcc_lo, v1, v7, vcc_lo
	v_mad_co_u64_u32 v[6:7], null, s9, v77, v[6:7]
	v_mov_b32_e32 v7, v12
	v_lshlrev_b64_e32 v[9:10], 2, v[14:15]
	v_mul_f16_e32 v30, v102, v30
	v_fmac_f16_e64 v141, v102, v48
	v_fma_f16 v56, v56, 2.0, -v85
	v_fma_f16 v102, v128, 2.0, -v32
	;; [unrolled: 1-line block ×4, first 2 shown]
	v_mad_co_u64_u32 v[15:16], null, s8, v68, 0
	s_delay_alu instid0(VALU_DEP_4)
	v_pack_b32_f16 v17, v56, v102
	v_add_co_u32 v13, vcc_lo, v0, v9
	v_mov_b32_e32 v9, v6
	v_pack_b32_f16 v18, v85, v32
	s_wait_alu 0xfffd
	v_add_co_ci_u32_e32 v14, vcc_lo, v1, v10, vcc_lo
	v_pack_b32_f16 v10, v59, v101
	v_mad_co_u64_u32 v[6:7], null, s9, v73, v[7:8]
	s_clause 0x2
	global_store_b32 v[2:3], v17, off
	global_store_b32 v[4:5], v18, off
	;; [unrolled: 1-line block ×3, first 2 shown]
	v_mov_b32_e32 v4, v16
	v_lshlrev_b64_e32 v[2:3], 2, v[8:9]
	v_mad_co_u64_u32 v[7:8], null, s8, v72, 0
	v_fma_f16 v30, v48, v123, -v30
	s_delay_alu instid0(VALU_DEP_4)
	v_mad_co_u64_u32 v[4:5], null, s9, v68, v[4:5]
	v_mov_b32_e32 v12, v6
	v_add_co_u32 v2, vcc_lo, v0, v2
	v_mov_b32_e32 v5, v8
	s_wait_alu 0xfffd
	v_add_co_ci_u32_e32 v3, vcc_lo, v1, v3, vcc_lo
	v_mov_b32_e32 v16, v4
	v_lshlrev_b64_e32 v[8:9], 2, v[11:12]
	v_mad_co_u64_u32 v[4:5], null, s9, v72, v[5:6]
	v_mad_co_u64_u32 v[5:6], null, s8, v66, 0
	s_delay_alu instid0(VALU_DEP_4)
	v_lshlrev_b64_e32 v[12:13], 2, v[15:16]
	v_mad_co_u64_u32 v[14:15], null, s8, v71, 0
	v_add_co_u32 v10, vcc_lo, v0, v8
	v_mov_b32_e32 v8, v4
	v_mov_b32_e32 v4, v6
	v_fma_f16 v29, v107, v122, -v29
	v_sub_f16_e32 v48, v65, v83
	v_sub_f16_e64 v83, v60, v141
	v_sub_f16_e64 v30, v131, v30
	s_wait_alu 0xfffd
	v_add_co_ci_u32_e32 v11, vcc_lo, v1, v9, vcc_lo
	v_lshlrev_b64_e32 v[6:7], 2, v[7:8]
	v_mad_co_u64_u32 v[8:9], null, s9, v66, v[4:5]
	v_sub_f16_e32 v29, v89, v29
	v_mov_b32_e32 v4, v15
	v_fma_f16 v60, v60, 2.0, -v83
	v_fma_f16 v100, v131, 2.0, -v30
	v_add_co_u32 v12, vcc_lo, v0, v12
	v_fma_f16 v61, v61, 2.0, -v82
	v_fma_f16 v89, v89, 2.0, -v29
	s_wait_alu 0xfffd
	v_add_co_ci_u32_e32 v13, vcc_lo, v1, v13, vcc_lo
	v_mad_co_u64_u32 v[17:18], null, s9, v71, v[4:5]
	v_pack_b32_f16 v20, v84, v31
	v_add_co_u32 v15, vcc_lo, v0, v6
	v_mad_co_u64_u32 v[18:19], null, s8, v64, 0
	v_mov_b32_e32 v6, v8
	v_pack_b32_f16 v22, v60, v100
	v_pack_b32_f16 v23, v83, v30
	s_wait_alu 0xfffd
	v_add_co_ci_u32_e32 v16, vcc_lo, v1, v7, vcc_lo
	v_pack_b32_f16 v7, v61, v89
	s_clause 0x3
	global_store_b32 v[2:3], v20, off
	global_store_b32 v[10:11], v22, off
	;; [unrolled: 1-line block ×4, first 2 shown]
	v_lshlrev_b64_e32 v[2:3], 2, v[5:6]
	v_mad_co_u64_u32 v[5:6], null, s8, v70, 0
	v_mov_b32_e32 v4, v19
	v_fma_f16 v28, v112, v121, -v28
	v_mov_b32_e32 v15, v17
	v_fma_f16 v62, v62, 2.0, -v67
	v_add_co_u32 v2, vcc_lo, v0, v2
	v_mad_co_u64_u32 v[9:10], null, s9, v64, v[4:5]
	v_sub_f16_e32 v28, v90, v28
	v_mad_co_u64_u32 v[10:11], null, s8, v58, 0
	v_lshlrev_b64_e32 v[7:8], 2, v[14:15]
	v_mov_b32_e32 v4, v6
	s_delay_alu instid0(VALU_DEP_4)
	v_fma_f16 v90, v90, 2.0, -v28
	s_wait_alu 0xfffd
	v_add_co_ci_u32_e32 v3, vcc_lo, v1, v3, vcc_lo
	v_pack_b32_f16 v16, v82, v29
	v_mad_co_u64_u32 v[12:13], null, s9, v70, v[4:5]
	v_add_co_u32 v6, vcc_lo, v0, v7
	v_mov_b32_e32 v4, v11
	v_mad_co_u64_u32 v[13:14], null, s8, v69, 0
	s_wait_alu 0xfffd
	v_add_co_ci_u32_e32 v7, vcc_lo, v1, v8, vcc_lo
	v_pack_b32_f16 v15, v62, v90
	v_mov_b32_e32 v19, v9
	v_mad_co_u64_u32 v[8:9], null, s9, v58, v[4:5]
	s_clause 0x1
	global_store_b32 v[2:3], v16, off
	global_store_b32 v[6:7], v15, off
	v_mad_co_u64_u32 v[15:16], null, s8, v37, 0
	v_mov_b32_e32 v6, v12
	v_mov_b32_e32 v4, v14
	v_lshlrev_b64_e32 v[2:3], 2, v[18:19]
	v_mov_b32_e32 v11, v8
	v_sub_f16_e32 v24, v91, v24
	v_fma_f16 v63, v63, 2.0, -v49
	v_mad_co_u64_u32 v[7:8], null, s9, v69, v[4:5]
	v_lshlrev_b64_e32 v[5:6], 2, v[5:6]
	v_mov_b32_e32 v4, v16
	v_lshlrev_b64_e32 v[8:9], 2, v[10:11]
	v_add_co_u32 v2, vcc_lo, v0, v2
	s_wait_alu 0xfffd
	v_add_co_ci_u32_e32 v3, vcc_lo, v1, v3, vcc_lo
	v_mad_co_u64_u32 v[10:11], null, s9, v37, v[4:5]
	v_mov_b32_e32 v14, v7
	v_add_co_u32 v4, vcc_lo, v0, v5
	s_wait_alu 0xfffd
	v_add_co_ci_u32_e32 v5, vcc_lo, v1, v6, vcc_lo
	s_delay_alu instid0(VALU_DEP_3) | instskip(SKIP_4) | instid1(VALU_DEP_4)
	v_lshlrev_b64_e32 v[6:7], 2, v[13:14]
	v_mov_b32_e32 v16, v10
	v_fma_f16 v91, v91, 2.0, -v24
	v_add_co_u32 v8, vcc_lo, v0, v8
	v_fma_f16 v65, v65, 2.0, -v48
	v_lshlrev_b64_e32 v[10:11], 2, v[15:16]
	s_wait_alu 0xfffd
	v_add_co_ci_u32_e32 v9, vcc_lo, v1, v9, vcc_lo
	v_add_co_u32 v6, vcc_lo, v0, v6
	v_pack_b32_f16 v12, v67, v28
	v_pack_b32_f16 v17, v63, v91
	s_wait_alu 0xfffd
	v_add_co_ci_u32_e32 v7, vcc_lo, v1, v7, vcc_lo
	v_pack_b32_f16 v13, v49, v24
	v_add_co_u32 v0, vcc_lo, v0, v10
	v_pack_b32_f16 v14, v65, v92
	s_wait_alu 0xfffd
	v_add_co_ci_u32_e32 v1, vcc_lo, v1, v11, vcc_lo
	v_pack_b32_f16 v10, v48, v21
	s_clause 0x4
	global_store_b32 v[2:3], v12, off
	global_store_b32 v[4:5], v17, off
	;; [unrolled: 1-line block ×5, first 2 shown]
.LBB0_15:
	s_nop 0
	s_sendmsg sendmsg(MSG_DEALLOC_VGPRS)
	s_endpgm
	.section	.rodata,"a",@progbits
	.p2align	6, 0x0
	.amdhsa_kernel fft_rtc_back_len3840_factors_10_6_2_2_2_2_2_2_wgs_128_tpt_128_halfLds_half_ip_CI_sbrr_dirReg
		.amdhsa_group_segment_fixed_size 0
		.amdhsa_private_segment_fixed_size 0
		.amdhsa_kernarg_size 88
		.amdhsa_user_sgpr_count 2
		.amdhsa_user_sgpr_dispatch_ptr 0
		.amdhsa_user_sgpr_queue_ptr 0
		.amdhsa_user_sgpr_kernarg_segment_ptr 1
		.amdhsa_user_sgpr_dispatch_id 0
		.amdhsa_user_sgpr_private_segment_size 0
		.amdhsa_wavefront_size32 1
		.amdhsa_uses_dynamic_stack 0
		.amdhsa_enable_private_segment 0
		.amdhsa_system_sgpr_workgroup_id_x 1
		.amdhsa_system_sgpr_workgroup_id_y 0
		.amdhsa_system_sgpr_workgroup_id_z 0
		.amdhsa_system_sgpr_workgroup_info 0
		.amdhsa_system_vgpr_workitem_id 0
		.amdhsa_next_free_vgpr 183
		.amdhsa_next_free_sgpr 35
		.amdhsa_reserve_vcc 1
		.amdhsa_float_round_mode_32 0
		.amdhsa_float_round_mode_16_64 0
		.amdhsa_float_denorm_mode_32 3
		.amdhsa_float_denorm_mode_16_64 3
		.amdhsa_fp16_overflow 0
		.amdhsa_workgroup_processor_mode 1
		.amdhsa_memory_ordered 1
		.amdhsa_forward_progress 0
		.amdhsa_round_robin_scheduling 0
		.amdhsa_exception_fp_ieee_invalid_op 0
		.amdhsa_exception_fp_denorm_src 0
		.amdhsa_exception_fp_ieee_div_zero 0
		.amdhsa_exception_fp_ieee_overflow 0
		.amdhsa_exception_fp_ieee_underflow 0
		.amdhsa_exception_fp_ieee_inexact 0
		.amdhsa_exception_int_div_zero 0
	.end_amdhsa_kernel
	.text
.Lfunc_end0:
	.size	fft_rtc_back_len3840_factors_10_6_2_2_2_2_2_2_wgs_128_tpt_128_halfLds_half_ip_CI_sbrr_dirReg, .Lfunc_end0-fft_rtc_back_len3840_factors_10_6_2_2_2_2_2_2_wgs_128_tpt_128_halfLds_half_ip_CI_sbrr_dirReg
                                        ; -- End function
	.section	.AMDGPU.csdata,"",@progbits
; Kernel info:
; codeLenInByte = 30480
; NumSgprs: 37
; NumVgprs: 183
; ScratchSize: 0
; MemoryBound: 0
; FloatMode: 240
; IeeeMode: 1
; LDSByteSize: 0 bytes/workgroup (compile time only)
; SGPRBlocks: 4
; VGPRBlocks: 22
; NumSGPRsForWavesPerEU: 37
; NumVGPRsForWavesPerEU: 183
; Occupancy: 8
; WaveLimiterHint : 1
; COMPUTE_PGM_RSRC2:SCRATCH_EN: 0
; COMPUTE_PGM_RSRC2:USER_SGPR: 2
; COMPUTE_PGM_RSRC2:TRAP_HANDLER: 0
; COMPUTE_PGM_RSRC2:TGID_X_EN: 1
; COMPUTE_PGM_RSRC2:TGID_Y_EN: 0
; COMPUTE_PGM_RSRC2:TGID_Z_EN: 0
; COMPUTE_PGM_RSRC2:TIDIG_COMP_CNT: 0
	.text
	.p2alignl 7, 3214868480
	.fill 96, 4, 3214868480
	.type	__hip_cuid_9ebdb5c392b65fd8,@object ; @__hip_cuid_9ebdb5c392b65fd8
	.section	.bss,"aw",@nobits
	.globl	__hip_cuid_9ebdb5c392b65fd8
__hip_cuid_9ebdb5c392b65fd8:
	.byte	0                               ; 0x0
	.size	__hip_cuid_9ebdb5c392b65fd8, 1

	.ident	"AMD clang version 19.0.0git (https://github.com/RadeonOpenCompute/llvm-project roc-6.4.0 25133 c7fe45cf4b819c5991fe208aaa96edf142730f1d)"
	.section	".note.GNU-stack","",@progbits
	.addrsig
	.addrsig_sym __hip_cuid_9ebdb5c392b65fd8
	.amdgpu_metadata
---
amdhsa.kernels:
  - .args:
      - .actual_access:  read_only
        .address_space:  global
        .offset:         0
        .size:           8
        .value_kind:     global_buffer
      - .offset:         8
        .size:           8
        .value_kind:     by_value
      - .actual_access:  read_only
        .address_space:  global
        .offset:         16
        .size:           8
        .value_kind:     global_buffer
      - .actual_access:  read_only
        .address_space:  global
        .offset:         24
        .size:           8
        .value_kind:     global_buffer
      - .offset:         32
        .size:           8
        .value_kind:     by_value
      - .actual_access:  read_only
        .address_space:  global
        .offset:         40
        .size:           8
        .value_kind:     global_buffer
      - .actual_access:  read_only
        .address_space:  global
        .offset:         48
        .size:           8
        .value_kind:     global_buffer
      - .offset:         56
        .size:           4
        .value_kind:     by_value
      - .actual_access:  read_only
        .address_space:  global
        .offset:         64
        .size:           8
        .value_kind:     global_buffer
      - .actual_access:  read_only
        .address_space:  global
        .offset:         72
        .size:           8
        .value_kind:     global_buffer
      - .address_space:  global
        .offset:         80
        .size:           8
        .value_kind:     global_buffer
    .group_segment_fixed_size: 0
    .kernarg_segment_align: 8
    .kernarg_segment_size: 88
    .language:       OpenCL C
    .language_version:
      - 2
      - 0
    .max_flat_workgroup_size: 128
    .name:           fft_rtc_back_len3840_factors_10_6_2_2_2_2_2_2_wgs_128_tpt_128_halfLds_half_ip_CI_sbrr_dirReg
    .private_segment_fixed_size: 0
    .sgpr_count:     37
    .sgpr_spill_count: 0
    .symbol:         fft_rtc_back_len3840_factors_10_6_2_2_2_2_2_2_wgs_128_tpt_128_halfLds_half_ip_CI_sbrr_dirReg.kd
    .uniform_work_group_size: 1
    .uses_dynamic_stack: false
    .vgpr_count:     183
    .vgpr_spill_count: 0
    .wavefront_size: 32
    .workgroup_processor_mode: 1
amdhsa.target:   amdgcn-amd-amdhsa--gfx1201
amdhsa.version:
  - 1
  - 2
...

	.end_amdgpu_metadata
